;; amdgpu-corpus repo=ggml-org/llama.cpp kind=compiled arch=gfx1030 opt=O3
	.amdgcn_target "amdgcn-amd-amdhsa--gfx1030"
	.amdhsa_code_object_version 6
	.section	.text._ZL15concat_f32_contILi0EEvPKfS1_Pfllllll,"axG",@progbits,_ZL15concat_f32_contILi0EEvPKfS1_Pfllllll,comdat
	.globl	_ZL15concat_f32_contILi0EEvPKfS1_Pfllllll ; -- Begin function _ZL15concat_f32_contILi0EEvPKfS1_Pfllllll
	.p2align	8
	.type	_ZL15concat_f32_contILi0EEvPKfS1_Pfllllll,@function
_ZL15concat_f32_contILi0EEvPKfS1_Pfllllll: ; @_ZL15concat_f32_contILi0EEvPKfS1_Pfllllll
; %bb.0:
	s_clause 0x2
	s_load_dwordx4 s[12:15], s[4:5], 0x30
	s_load_dwordx2 s[2:3], s[4:5], 0x40
	s_load_dword s0, s[4:5], 0x54
	v_mov_b32_e32 v3, 0
	s_waitcnt lgkmcnt(0)
	s_mul_i32 s1, s14, s13
	s_mul_hi_u32 s7, s14, s12
	s_mul_i32 s8, s15, s12
	s_mul_i32 s10, s14, s12
	s_add_i32 s1, s7, s1
	s_mul_i32 s3, s10, s3
	s_mul_hi_u32 s7, s10, s2
	s_add_i32 s1, s1, s8
	s_add_i32 s3, s7, s3
	s_mul_i32 s1, s1, s2
	s_mul_i32 s2, s10, s2
	s_add_i32 s3, s3, s1
	s_add_u32 s8, s4, 0x48
	s_addc_u32 s9, s5, 0
	s_and_b32 s16, s0, 0xffff
	s_mul_i32 s0, s16, s6
	s_mul_hi_u32 s1, s16, s6
	v_add_co_u32 v1, s6, s0, v0
	v_add_co_ci_u32_e64 v2, null, s1, 0, s6
	s_mov_b32 s6, exec_lo
	v_cmpx_gt_i64_e64 s[2:3], v[1:2]
	s_cbranch_execz .LBB0_11
; %bb.1:
	s_load_dword s18, s[8:9], 0x0
	s_load_dwordx8 s[4:11], s[4:5], 0x0
	v_cvt_f32_u32_e32 v4, s12
	s_lshl_b64 s[14:15], s[0:1], 2
	v_lshlrev_b32_e32 v0, 2, v0
	s_mov_b32 s23, 0
	v_rcp_iflag_f32_e32 v4, v4
	v_mul_f32_e32 v4, 0x4f7ffffe, v4
	s_waitcnt lgkmcnt(0)
	s_mul_hi_u32 s17, s16, s18
	s_mul_i32 s16, s16, s18
	s_lshl_b64 s[24:25], s[10:11], 2
	s_lshl_b64 s[18:19], s[16:17], 2
	v_cvt_u32_f32_e32 v4, v4
	s_sub_u32 s1, 0, s24
	s_subb_u32 s20, 0, s25
	s_sub_u32 s21, 0, s12
	s_subb_u32 s22, 0, s13
	s_sub_i32 s0, 0, s12
	v_mul_lo_u32 v5, s0, v4
	v_sub_co_u32 v6, s0, v0, s24
	v_sub_co_ci_u32_e64 v7, null, 0, s25, s0
	v_add_co_u32 v0, s0, s8, v0
	v_add_co_u32 v9, vcc_lo, s6, v6
	v_mul_hi_u32 v5, v4, v5
	v_add_co_ci_u32_e64 v8, null, s9, 0, s0
	v_add_co_ci_u32_e64 v10, null, s7, v7, vcc_lo
	s_ashr_i32 s6, s13, 31
	v_add_nc_u32_e32 v11, v4, v5
	s_branch .LBB0_3
.LBB0_2:                                ;   in Loop: Header=BB0_3 Depth=1
	s_or_b32 exec_lo, exec_lo, s0
	global_load_dword v6, v[6:7], off
	v_add_co_u32 v1, vcc_lo, v1, s16
	v_add_co_ci_u32_e64 v2, null, s17, v2, vcc_lo
	v_add_co_u32 v4, s0, v0, s14
	v_add_co_ci_u32_e64 v5, null, s15, v8, s0
	v_cmp_le_i64_e32 vcc_lo, s[2:3], v[1:2]
	s_add_u32 s14, s14, s18
	s_addc_u32 s15, s15, s19
	s_or_b32 s23, vcc_lo, s23
	s_waitcnt vmcnt(0)
	global_store_dword v[4:5], v6, off
	s_andn2_b32 exec_lo, exec_lo, s23
	s_cbranch_execz .LBB0_11
.LBB0_3:                                ; =>This Inner Loop Header: Depth=1
	v_or_b32_e32 v4, s13, v2
	v_cmp_ne_u64_e32 vcc_lo, 0, v[3:4]
                                        ; implicit-def: $vgpr4_vgpr5
	s_and_saveexec_b32 s0, vcc_lo
	s_xor_b32 s24, exec_lo, s0
	s_cbranch_execz .LBB0_5
; %bb.4:                                ;   in Loop: Header=BB0_3 Depth=1
	s_add_u32 s8, s12, s6
	s_mov_b32 s7, s6
	s_addc_u32 s9, s13, s6
	v_ashrrev_i32_e32 v14, 31, v2
	s_xor_b64 s[8:9], s[8:9], s[6:7]
	v_cvt_f32_u32_e32 v4, s8
	v_cvt_f32_u32_e32 v5, s9
	s_sub_u32 s0, 0, s8
	s_subb_u32 s26, 0, s9
	v_add_co_u32 v6, vcc_lo, v1, v14
	v_fmac_f32_e32 v4, 0x4f800000, v5
	v_xor_b32_e32 v15, v6, v14
	v_rcp_f32_e32 v4, v4
	v_mul_f32_e32 v4, 0x5f7ffffc, v4
	v_mul_f32_e32 v5, 0x2f800000, v4
	v_trunc_f32_e32 v5, v5
	v_fmac_f32_e32 v4, 0xcf800000, v5
	v_cvt_u32_f32_e32 v5, v5
	v_cvt_u32_f32_e32 v4, v4
	v_readfirstlane_b32 s7, v5
	v_readfirstlane_b32 s25, v4
	s_mul_i32 s27, s0, s7
	v_add_co_ci_u32_e64 v4, null, v2, v14, vcc_lo
	s_mul_hi_u32 s29, s0, s25
	s_mul_i32 s28, s26, s25
	s_add_i32 s27, s29, s27
	s_mul_i32 s30, s0, s25
	s_add_i32 s27, s27, s28
	s_mul_hi_u32 s29, s25, s30
	s_mul_i32 s33, s25, s27
	s_mul_hi_u32 s31, s7, s30
	s_mul_i32 s28, s7, s30
	s_mul_hi_u32 s30, s25, s27
	s_add_u32 s29, s29, s33
	s_addc_u32 s30, 0, s30
	s_mul_hi_u32 s34, s7, s27
	s_add_u32 s28, s29, s28
	s_mul_i32 s27, s7, s27
	s_addc_u32 s28, s30, s31
	s_addc_u32 s29, s34, 0
	s_add_u32 s27, s28, s27
	s_addc_u32 s28, 0, s29
	s_add_u32 s25, s25, s27
	s_cselect_b32 s27, -1, 0
	s_mul_hi_u32 s29, s0, s25
	s_cmp_lg_u32 s27, 0
	s_mul_i32 s27, s0, s25
	s_addc_u32 s7, s7, s28
	s_mul_i32 s26, s26, s25
	s_mul_i32 s0, s0, s7
	s_mul_hi_u32 s28, s25, s27
	s_add_i32 s0, s29, s0
	s_mul_hi_u32 s29, s7, s27
	s_add_i32 s0, s0, s26
	s_mul_i32 s26, s7, s27
	s_mul_i32 s31, s25, s0
	s_mul_hi_u32 s30, s25, s0
	s_add_u32 s28, s28, s31
	s_addc_u32 s30, 0, s30
	s_mul_hi_u32 s27, s7, s0
	s_add_u32 s26, s28, s26
	s_mul_i32 s0, s7, s0
	s_addc_u32 s26, s30, s29
	s_addc_u32 s27, s27, 0
	s_add_u32 s0, s26, s0
	s_addc_u32 s26, 0, s27
	s_add_u32 s0, s25, s0
	s_cselect_b32 s25, -1, 0
	v_xor_b32_e32 v16, v4, v14
	s_cmp_lg_u32 s25, 0
	v_mul_hi_u32 v17, v15, s0
	s_addc_u32 s7, s7, s26
	v_mad_u64_u32 v[4:5], null, v15, s7, 0
	v_mad_u64_u32 v[6:7], null, v16, s0, 0
	;; [unrolled: 1-line block ×3, first 2 shown]
	v_add_co_u32 v4, vcc_lo, v17, v4
	v_add_co_ci_u32_e64 v5, null, 0, v5, vcc_lo
	v_add_co_u32 v4, vcc_lo, v4, v6
	v_add_co_ci_u32_e32 v4, vcc_lo, v5, v7, vcc_lo
	v_add_co_ci_u32_e32 v5, vcc_lo, 0, v13, vcc_lo
	v_add_co_u32 v6, vcc_lo, v4, v12
	v_add_co_ci_u32_e64 v7, null, 0, v5, vcc_lo
	v_mul_lo_u32 v12, s9, v6
	v_mad_u64_u32 v[4:5], null, s8, v6, 0
	v_mul_lo_u32 v13, s8, v7
	v_sub_co_u32 v4, vcc_lo, v15, v4
	v_add3_u32 v5, v5, v13, v12
	v_add_co_u32 v13, s0, v6, 2
	v_add_co_ci_u32_e64 v15, null, 0, v7, s0
	v_sub_nc_u32_e32 v12, v16, v5
	v_sub_co_u32 v17, s0, v4, s8
	v_sub_co_ci_u32_e64 v5, null, v16, v5, vcc_lo
	v_subrev_co_ci_u32_e64 v12, null, s9, v12, vcc_lo
	v_cmp_le_u32_e32 vcc_lo, s8, v17
	v_subrev_co_ci_u32_e64 v12, null, 0, v12, s0
	v_cndmask_b32_e64 v16, 0, -1, vcc_lo
	v_cmp_le_u32_e32 vcc_lo, s9, v12
	v_cndmask_b32_e64 v17, 0, -1, vcc_lo
	v_cmp_le_u32_e32 vcc_lo, s8, v4
	;; [unrolled: 2-line block ×3, first 2 shown]
	v_cndmask_b32_e64 v18, 0, -1, vcc_lo
	v_cmp_eq_u32_e32 vcc_lo, s9, v12
	v_cndmask_b32_e32 v12, v17, v16, vcc_lo
	v_add_co_u32 v16, vcc_lo, v6, 1
	v_add_co_ci_u32_e64 v17, null, 0, v7, vcc_lo
	v_cmp_eq_u32_e32 vcc_lo, s9, v5
	v_cndmask_b32_e32 v4, v18, v4, vcc_lo
	v_cmp_ne_u32_e32 vcc_lo, 0, v12
	v_xor_b32_e32 v12, s6, v14
	v_cmp_ne_u32_e64 s0, 0, v4
	v_cndmask_b32_e32 v4, v16, v13, vcc_lo
	v_cndmask_b32_e32 v5, v17, v15, vcc_lo
	v_cndmask_b32_e64 v4, v6, v4, s0
	v_cndmask_b32_e64 v5, v7, v5, s0
	v_xor_b32_e32 v4, v4, v12
	v_xor_b32_e32 v5, v5, v12
	v_sub_co_u32 v4, vcc_lo, v4, v12
	v_sub_co_ci_u32_e64 v5, null, v5, v12, vcc_lo
.LBB0_5:                                ;   in Loop: Header=BB0_3 Depth=1
	s_andn2_saveexec_b32 s0, s24
	s_cbranch_execz .LBB0_7
; %bb.6:                                ;   in Loop: Header=BB0_3 Depth=1
	v_mul_hi_u32 v4, v1, v11
	v_mul_lo_u32 v5, v4, s12
	v_add_nc_u32_e32 v6, 1, v4
	v_sub_nc_u32_e32 v5, v1, v5
	v_subrev_nc_u32_e32 v7, s12, v5
	v_cmp_le_u32_e32 vcc_lo, s12, v5
	v_cndmask_b32_e32 v5, v5, v7, vcc_lo
	v_cndmask_b32_e32 v4, v4, v6, vcc_lo
	v_cmp_le_u32_e32 vcc_lo, s12, v5
	v_add_nc_u32_e32 v6, 1, v4
	v_mov_b32_e32 v5, v3
	v_cndmask_b32_e32 v4, v4, v6, vcc_lo
.LBB0_7:                                ;   in Loop: Header=BB0_3 Depth=1
	s_or_b32 exec_lo, exec_lo, s0
	v_mad_u64_u32 v[6:7], null, s21, v4, v[1:2]
	v_mul_lo_u32 v12, s21, v5
	v_mul_lo_u32 v13, s22, v4
	v_add3_u32 v7, v13, v7, v12
	v_cmp_le_i64_e32 vcc_lo, s[10:11], v[6:7]
                                        ; implicit-def: $vgpr6_vgpr7
	s_and_saveexec_b32 s0, vcc_lo
	s_xor_b32 s0, exec_lo, s0
	s_cbranch_execz .LBB0_9
; %bb.8:                                ;   in Loop: Header=BB0_3 Depth=1
	v_mad_u64_u32 v[6:7], null, s1, v4, s[14:15]
	v_mul_lo_u32 v5, s1, v5
	v_mul_lo_u32 v4, s20, v4
	v_add_co_u32 v6, vcc_lo, v9, v6
	v_add3_u32 v4, v4, v7, v5
	v_add_co_ci_u32_e64 v7, null, v10, v4, vcc_lo
                                        ; implicit-def: $vgpr4_vgpr5
.LBB0_9:                                ;   in Loop: Header=BB0_3 Depth=1
	s_andn2_saveexec_b32 s0, s0
	s_cbranch_execz .LBB0_2
; %bb.10:                               ;   in Loop: Header=BB0_3 Depth=1
	v_mul_lo_u32 v12, v5, s12
	v_mul_lo_u32 v13, v4, s13
	v_mad_u64_u32 v[6:7], null, v4, s12, 0
	v_mul_lo_u32 v14, v5, s10
	v_mul_lo_u32 v15, v4, s11
	v_mad_u64_u32 v[4:5], null, v4, s10, 0
	v_add3_u32 v7, v7, v13, v12
	v_sub_co_u32 v6, vcc_lo, v1, v6
	v_add3_u32 v5, v5, v15, v14
	v_sub_co_ci_u32_e64 v7, null, v2, v7, vcc_lo
	v_lshlrev_b64 v[4:5], 2, v[4:5]
	v_lshlrev_b64 v[6:7], 2, v[6:7]
	v_add_co_u32 v4, vcc_lo, s4, v4
	v_add_co_ci_u32_e64 v5, null, s5, v5, vcc_lo
	v_add_co_u32 v6, vcc_lo, v4, v6
	v_add_co_ci_u32_e64 v7, null, v5, v7, vcc_lo
	s_branch .LBB0_2
.LBB0_11:
	s_endpgm
	.section	.rodata,"a",@progbits
	.p2align	6, 0x0
	.amdhsa_kernel _ZL15concat_f32_contILi0EEvPKfS1_Pfllllll
		.amdhsa_group_segment_fixed_size 0
		.amdhsa_private_segment_fixed_size 0
		.amdhsa_kernarg_size 328
		.amdhsa_user_sgpr_count 6
		.amdhsa_user_sgpr_private_segment_buffer 1
		.amdhsa_user_sgpr_dispatch_ptr 0
		.amdhsa_user_sgpr_queue_ptr 0
		.amdhsa_user_sgpr_kernarg_segment_ptr 1
		.amdhsa_user_sgpr_dispatch_id 0
		.amdhsa_user_sgpr_flat_scratch_init 0
		.amdhsa_user_sgpr_private_segment_size 0
		.amdhsa_wavefront_size32 1
		.amdhsa_uses_dynamic_stack 0
		.amdhsa_system_sgpr_private_segment_wavefront_offset 0
		.amdhsa_system_sgpr_workgroup_id_x 1
		.amdhsa_system_sgpr_workgroup_id_y 0
		.amdhsa_system_sgpr_workgroup_id_z 0
		.amdhsa_system_sgpr_workgroup_info 0
		.amdhsa_system_vgpr_workitem_id 0
		.amdhsa_next_free_vgpr 19
		.amdhsa_next_free_sgpr 35
		.amdhsa_reserve_vcc 1
		.amdhsa_reserve_flat_scratch 0
		.amdhsa_float_round_mode_32 0
		.amdhsa_float_round_mode_16_64 0
		.amdhsa_float_denorm_mode_32 3
		.amdhsa_float_denorm_mode_16_64 3
		.amdhsa_dx10_clamp 1
		.amdhsa_ieee_mode 1
		.amdhsa_fp16_overflow 0
		.amdhsa_workgroup_processor_mode 1
		.amdhsa_memory_ordered 1
		.amdhsa_forward_progress 1
		.amdhsa_shared_vgpr_count 0
		.amdhsa_exception_fp_ieee_invalid_op 0
		.amdhsa_exception_fp_denorm_src 0
		.amdhsa_exception_fp_ieee_div_zero 0
		.amdhsa_exception_fp_ieee_overflow 0
		.amdhsa_exception_fp_ieee_underflow 0
		.amdhsa_exception_fp_ieee_inexact 0
		.amdhsa_exception_int_div_zero 0
	.end_amdhsa_kernel
	.section	.text._ZL15concat_f32_contILi0EEvPKfS1_Pfllllll,"axG",@progbits,_ZL15concat_f32_contILi0EEvPKfS1_Pfllllll,comdat
.Lfunc_end0:
	.size	_ZL15concat_f32_contILi0EEvPKfS1_Pfllllll, .Lfunc_end0-_ZL15concat_f32_contILi0EEvPKfS1_Pfllllll
                                        ; -- End function
	.set _ZL15concat_f32_contILi0EEvPKfS1_Pfllllll.num_vgpr, 19
	.set _ZL15concat_f32_contILi0EEvPKfS1_Pfllllll.num_agpr, 0
	.set _ZL15concat_f32_contILi0EEvPKfS1_Pfllllll.numbered_sgpr, 35
	.set _ZL15concat_f32_contILi0EEvPKfS1_Pfllllll.num_named_barrier, 0
	.set _ZL15concat_f32_contILi0EEvPKfS1_Pfllllll.private_seg_size, 0
	.set _ZL15concat_f32_contILi0EEvPKfS1_Pfllllll.uses_vcc, 1
	.set _ZL15concat_f32_contILi0EEvPKfS1_Pfllllll.uses_flat_scratch, 0
	.set _ZL15concat_f32_contILi0EEvPKfS1_Pfllllll.has_dyn_sized_stack, 0
	.set _ZL15concat_f32_contILi0EEvPKfS1_Pfllllll.has_recursion, 0
	.set _ZL15concat_f32_contILi0EEvPKfS1_Pfllllll.has_indirect_call, 0
	.section	.AMDGPU.csdata,"",@progbits
; Kernel info:
; codeLenInByte = 1340
; TotalNumSgprs: 37
; NumVgprs: 19
; ScratchSize: 0
; MemoryBound: 0
; FloatMode: 240
; IeeeMode: 1
; LDSByteSize: 0 bytes/workgroup (compile time only)
; SGPRBlocks: 0
; VGPRBlocks: 2
; NumSGPRsForWavesPerEU: 37
; NumVGPRsForWavesPerEU: 19
; Occupancy: 16
; WaveLimiterHint : 0
; COMPUTE_PGM_RSRC2:SCRATCH_EN: 0
; COMPUTE_PGM_RSRC2:USER_SGPR: 6
; COMPUTE_PGM_RSRC2:TRAP_HANDLER: 0
; COMPUTE_PGM_RSRC2:TGID_X_EN: 1
; COMPUTE_PGM_RSRC2:TGID_Y_EN: 0
; COMPUTE_PGM_RSRC2:TGID_Z_EN: 0
; COMPUTE_PGM_RSRC2:TIDIG_COMP_CNT: 0
	.section	.text._ZL15concat_f32_contILi1EEvPKfS1_Pfllllll,"axG",@progbits,_ZL15concat_f32_contILi1EEvPKfS1_Pfllllll,comdat
	.globl	_ZL15concat_f32_contILi1EEvPKfS1_Pfllllll ; -- Begin function _ZL15concat_f32_contILi1EEvPKfS1_Pfllllll
	.p2align	8
	.type	_ZL15concat_f32_contILi1EEvPKfS1_Pfllllll,@function
_ZL15concat_f32_contILi1EEvPKfS1_Pfllllll: ; @_ZL15concat_f32_contILi1EEvPKfS1_Pfllllll
; %bb.0:
	s_clause 0x2
	s_load_dwordx4 s[0:3], s[4:5], 0x30
	s_load_dwordx2 s[12:13], s[4:5], 0x40
	s_load_dword s7, s[4:5], 0x54
	v_mov_b32_e32 v2, 0
	v_mov_b32_e32 v1, v2
	s_waitcnt lgkmcnt(0)
	s_mul_i32 s8, s2, s1
	s_mul_hi_u32 s9, s2, s0
	s_mul_i32 s3, s3, s0
	s_mul_i32 s20, s2, s0
	s_add_i32 s21, s9, s8
	s_mul_i32 s2, s20, s13
	s_mul_hi_u32 s8, s20, s12
	s_add_i32 s21, s21, s3
	s_add_i32 s2, s8, s2
	s_mul_i32 s3, s21, s12
	s_add_i32 s3, s2, s3
	s_add_u32 s8, s4, 0x48
	s_addc_u32 s9, s5, 0
	s_and_b32 s10, s7, 0xffff
	s_mul_i32 s2, s20, s12
	v_mad_u64_u32 v[0:1], null, s10, s6, v[0:1]
	s_mov_b32 s6, exec_lo
	v_cmpx_gt_i64_e64 s[2:3], v[0:1]
	s_cbranch_execz .LBB1_11
; %bb.1:
	s_load_dwordx2 s[14:15], s[4:5], 0x20
	s_load_dword s6, s[8:9], 0x0
	v_cvt_f32_u32_e32 v3, s20
	s_mov_b32 s23, 0
	v_rcp_iflag_f32_e32 v3, v3
	v_mul_f32_e32 v3, 0x4f7ffffe, v3
	s_waitcnt lgkmcnt(0)
	s_mul_i32 s8, s0, s15
	s_mul_hi_u32 s9, s0, s14
	s_mul_i32 s1, s1, s14
	s_mul_hi_u32 s7, s10, s6
	s_mul_i32 s6, s10, s6
	s_add_i32 s8, s9, s8
	v_cvt_u32_f32_e32 v3, v3
	s_lshl_b64 s[12:13], s[6:7], 2
	s_add_i32 s15, s8, s1
	s_sub_u32 s1, 0, s20
	s_subb_u32 s22, 0, s21
	s_sub_i32 s8, 0, s20
	s_mul_i32 s14, s0, s14
	v_mul_lo_u32 v4, s8, v3
	s_clause 0x1
	s_load_dwordx4 s[8:11], s[4:5], 0x0
	s_load_dwordx2 s[4:5], s[4:5], 0x10
	s_ashr_i32 s16, s21, 31
	v_mul_hi_u32 v6, v3, v4
	v_lshlrev_b64 v[4:5], 2, v[0:1]
	v_add_nc_u32_e32 v10, v3, v6
	s_branch .LBB1_3
.LBB1_2:                                ;   in Loop: Header=BB1_3 Depth=1
	s_or_b32 exec_lo, exec_lo, s0
	global_load_dword v3, v[8:9], off
	v_add_co_u32 v0, vcc_lo, v0, s6
	v_add_co_ci_u32_e64 v1, null, s7, v1, vcc_lo
	s_waitcnt lgkmcnt(0)
	v_add_co_u32 v6, vcc_lo, s4, v4
	v_add_co_ci_u32_e64 v7, null, s5, v5, vcc_lo
	v_cmp_le_i64_e32 vcc_lo, s[2:3], v[0:1]
	v_add_co_u32 v4, s0, v4, s12
	v_add_co_ci_u32_e64 v5, null, s13, v5, s0
	s_or_b32 s23, vcc_lo, s23
	s_waitcnt vmcnt(0)
	global_store_dword v[6:7], v3, off
	s_andn2_b32 exec_lo, exec_lo, s23
	s_cbranch_execz .LBB1_11
.LBB1_3:                                ; =>This Inner Loop Header: Depth=1
	v_or_b32_e32 v3, s21, v1
                                        ; implicit-def: $vgpr6_vgpr7
	s_mov_b32 s0, exec_lo
	v_cmpx_ne_u64_e32 0, v[2:3]
	s_xor_b32 s24, exec_lo, s0
	s_cbranch_execz .LBB1_5
; %bb.4:                                ;   in Loop: Header=BB1_3 Depth=1
	s_add_u32 s18, s20, s16
	s_mov_b32 s17, s16
	s_addc_u32 s19, s21, s16
	v_ashrrev_i32_e32 v13, 31, v1
	s_xor_b64 s[18:19], s[18:19], s[16:17]
	v_cvt_f32_u32_e32 v3, s18
	v_cvt_f32_u32_e32 v6, s19
	s_sub_u32 s0, 0, s18
	s_subb_u32 s26, 0, s19
	v_add_co_u32 v7, vcc_lo, v0, v13
	v_fmac_f32_e32 v3, 0x4f800000, v6
	v_xor_b32_e32 v14, v7, v13
	v_rcp_f32_e32 v3, v3
	v_mul_f32_e32 v3, 0x5f7ffffc, v3
	v_mul_f32_e32 v6, 0x2f800000, v3
	v_trunc_f32_e32 v6, v6
	v_fmac_f32_e32 v3, 0xcf800000, v6
	v_cvt_u32_f32_e32 v6, v6
	v_cvt_u32_f32_e32 v3, v3
	v_readfirstlane_b32 s17, v6
	v_readfirstlane_b32 s25, v3
	s_mul_i32 s27, s0, s17
	v_add_co_ci_u32_e64 v3, null, v1, v13, vcc_lo
	s_mul_hi_u32 s29, s0, s25
	s_mul_i32 s28, s26, s25
	s_add_i32 s27, s29, s27
	s_mul_i32 s30, s0, s25
	s_add_i32 s27, s27, s28
	s_mul_hi_u32 s29, s25, s30
	s_mul_i32 s33, s25, s27
	s_mul_hi_u32 s31, s17, s30
	s_mul_i32 s28, s17, s30
	s_mul_hi_u32 s30, s25, s27
	s_add_u32 s29, s29, s33
	s_addc_u32 s30, 0, s30
	s_mul_hi_u32 s34, s17, s27
	s_add_u32 s28, s29, s28
	s_mul_i32 s27, s17, s27
	s_addc_u32 s28, s30, s31
	s_addc_u32 s29, s34, 0
	s_add_u32 s27, s28, s27
	s_addc_u32 s28, 0, s29
	s_add_u32 s25, s25, s27
	s_cselect_b32 s27, -1, 0
	s_mul_hi_u32 s29, s0, s25
	s_cmp_lg_u32 s27, 0
	s_mul_i32 s27, s0, s25
	s_addc_u32 s17, s17, s28
	s_mul_i32 s26, s26, s25
	s_mul_i32 s0, s0, s17
	s_mul_hi_u32 s28, s25, s27
	s_add_i32 s0, s29, s0
	s_mul_hi_u32 s29, s17, s27
	s_add_i32 s0, s0, s26
	s_mul_i32 s26, s17, s27
	s_mul_i32 s31, s25, s0
	s_mul_hi_u32 s30, s25, s0
	s_add_u32 s28, s28, s31
	s_addc_u32 s30, 0, s30
	s_mul_hi_u32 s27, s17, s0
	s_add_u32 s26, s28, s26
	s_mul_i32 s0, s17, s0
	s_addc_u32 s26, s30, s29
	s_addc_u32 s27, s27, 0
	s_add_u32 s0, s26, s0
	s_addc_u32 s26, 0, s27
	s_add_u32 s0, s25, s0
	s_cselect_b32 s25, -1, 0
	v_xor_b32_e32 v3, v3, v13
	s_cmp_lg_u32 s25, 0
	v_mul_hi_u32 v15, v14, s0
	s_addc_u32 s17, s17, s26
	v_mad_u64_u32 v[6:7], null, v14, s17, 0
	v_mad_u64_u32 v[8:9], null, v3, s0, 0
	;; [unrolled: 1-line block ×3, first 2 shown]
	v_add_co_u32 v6, vcc_lo, v15, v6
	v_add_co_ci_u32_e64 v7, null, 0, v7, vcc_lo
	v_add_co_u32 v6, vcc_lo, v6, v8
	v_add_co_ci_u32_e32 v6, vcc_lo, v7, v9, vcc_lo
	v_add_co_ci_u32_e32 v7, vcc_lo, 0, v12, vcc_lo
	v_add_co_u32 v8, vcc_lo, v6, v11
	v_add_co_ci_u32_e64 v9, null, 0, v7, vcc_lo
	v_mul_lo_u32 v11, s19, v8
	v_mad_u64_u32 v[6:7], null, s18, v8, 0
	v_mul_lo_u32 v12, s18, v9
	v_sub_co_u32 v6, vcc_lo, v14, v6
	v_add3_u32 v7, v7, v12, v11
	v_add_co_u32 v12, s0, v8, 2
	v_add_co_ci_u32_e64 v14, null, 0, v9, s0
	v_sub_nc_u32_e32 v11, v3, v7
	v_sub_co_u32 v15, s0, v6, s18
	v_sub_co_ci_u32_e64 v3, null, v3, v7, vcc_lo
	v_subrev_co_ci_u32_e64 v11, null, s19, v11, vcc_lo
	v_cmp_le_u32_e32 vcc_lo, s18, v15
	v_subrev_co_ci_u32_e64 v11, null, 0, v11, s0
	v_cndmask_b32_e64 v7, 0, -1, vcc_lo
	v_cmp_le_u32_e32 vcc_lo, s19, v11
	v_cndmask_b32_e64 v15, 0, -1, vcc_lo
	v_cmp_le_u32_e32 vcc_lo, s18, v6
	;; [unrolled: 2-line block ×3, first 2 shown]
	v_cndmask_b32_e64 v16, 0, -1, vcc_lo
	v_cmp_eq_u32_e32 vcc_lo, s19, v11
	v_cndmask_b32_e32 v7, v15, v7, vcc_lo
	v_add_co_u32 v11, vcc_lo, v8, 1
	v_add_co_ci_u32_e64 v15, null, 0, v9, vcc_lo
	v_cmp_eq_u32_e32 vcc_lo, s19, v3
	v_cndmask_b32_e32 v3, v16, v6, vcc_lo
	v_cmp_ne_u32_e32 vcc_lo, 0, v7
	v_xor_b32_e32 v7, s16, v13
	v_cmp_ne_u32_e64 s0, 0, v3
	v_cndmask_b32_e32 v3, v11, v12, vcc_lo
	v_cndmask_b32_e32 v6, v15, v14, vcc_lo
	v_cndmask_b32_e64 v3, v8, v3, s0
	v_cndmask_b32_e64 v6, v9, v6, s0
	v_xor_b32_e32 v3, v3, v7
	v_xor_b32_e32 v8, v6, v7
	v_sub_co_u32 v6, vcc_lo, v3, v7
	v_sub_co_ci_u32_e64 v7, null, v8, v7, vcc_lo
.LBB1_5:                                ;   in Loop: Header=BB1_3 Depth=1
	s_andn2_saveexec_b32 s0, s24
	s_cbranch_execz .LBB1_7
; %bb.6:                                ;   in Loop: Header=BB1_3 Depth=1
	v_mul_hi_u32 v3, v0, v10
	v_mul_lo_u32 v6, v3, s20
	v_add_nc_u32_e32 v7, 1, v3
	v_sub_nc_u32_e32 v6, v0, v6
	v_subrev_nc_u32_e32 v8, s20, v6
	v_cmp_le_u32_e32 vcc_lo, s20, v6
	v_cndmask_b32_e32 v6, v6, v8, vcc_lo
	v_cndmask_b32_e32 v3, v3, v7, vcc_lo
	v_cmp_le_u32_e32 vcc_lo, s20, v6
	v_add_nc_u32_e32 v7, 1, v3
	v_cndmask_b32_e32 v6, v3, v7, vcc_lo
	v_mov_b32_e32 v7, v2
.LBB1_7:                                ;   in Loop: Header=BB1_3 Depth=1
	s_or_b32 exec_lo, exec_lo, s0
	v_mad_u64_u32 v[8:9], null, s1, v6, v[0:1]
	v_mul_lo_u32 v3, s1, v7
	v_mul_lo_u32 v11, s22, v6
	v_add3_u32 v9, v11, v9, v3
	v_cmp_le_i64_e32 vcc_lo, s[14:15], v[8:9]
                                        ; implicit-def: $vgpr8_vgpr9
	s_and_saveexec_b32 s0, vcc_lo
	s_xor_b32 s0, exec_lo, s0
	s_cbranch_execz .LBB1_9
; %bb.8:                                ;   in Loop: Header=BB1_3 Depth=1
	v_not_b32_e32 v3, v7
	v_not_b32_e32 v6, v6
	v_alignbit_b32 v3, v3, v6, 30
	v_lshlrev_b32_e32 v6, 2, v6
	v_mul_lo_u32 v3, s14, v3
	v_mul_lo_u32 v8, s15, v6
	v_mad_u64_u32 v[6:7], null, s14, v6, v[4:5]
	v_add3_u32 v3, v8, v7, v3
	s_waitcnt lgkmcnt(0)
	v_add_co_u32 v8, vcc_lo, s10, v6
                                        ; implicit-def: $vgpr6_vgpr7
	v_add_co_ci_u32_e64 v9, null, s11, v3, vcc_lo
.LBB1_9:                                ;   in Loop: Header=BB1_3 Depth=1
	s_andn2_saveexec_b32 s0, s0
	s_cbranch_execz .LBB1_2
; %bb.10:                               ;   in Loop: Header=BB1_3 Depth=1
	v_mul_lo_u32 v3, v7, s20
	v_mul_lo_u32 v11, v6, s21
	v_mad_u64_u32 v[8:9], null, v6, s20, 0
	v_mul_lo_u32 v12, v7, s14
	v_mul_lo_u32 v13, v6, s15
	v_mad_u64_u32 v[6:7], null, v6, s14, 0
	v_add3_u32 v3, v9, v11, v3
	v_sub_co_u32 v8, vcc_lo, v0, v8
	v_add3_u32 v7, v7, v13, v12
	v_sub_co_ci_u32_e64 v9, null, v1, v3, vcc_lo
	v_lshlrev_b64 v[6:7], 2, v[6:7]
	v_lshlrev_b64 v[8:9], 2, v[8:9]
	s_waitcnt lgkmcnt(0)
	v_add_co_u32 v3, vcc_lo, s8, v6
	v_add_co_ci_u32_e64 v6, null, s9, v7, vcc_lo
	v_add_co_u32 v8, vcc_lo, v3, v8
	v_add_co_ci_u32_e64 v9, null, v6, v9, vcc_lo
	s_branch .LBB1_2
.LBB1_11:
	s_endpgm
	.section	.rodata,"a",@progbits
	.p2align	6, 0x0
	.amdhsa_kernel _ZL15concat_f32_contILi1EEvPKfS1_Pfllllll
		.amdhsa_group_segment_fixed_size 0
		.amdhsa_private_segment_fixed_size 0
		.amdhsa_kernarg_size 328
		.amdhsa_user_sgpr_count 6
		.amdhsa_user_sgpr_private_segment_buffer 1
		.amdhsa_user_sgpr_dispatch_ptr 0
		.amdhsa_user_sgpr_queue_ptr 0
		.amdhsa_user_sgpr_kernarg_segment_ptr 1
		.amdhsa_user_sgpr_dispatch_id 0
		.amdhsa_user_sgpr_flat_scratch_init 0
		.amdhsa_user_sgpr_private_segment_size 0
		.amdhsa_wavefront_size32 1
		.amdhsa_uses_dynamic_stack 0
		.amdhsa_system_sgpr_private_segment_wavefront_offset 0
		.amdhsa_system_sgpr_workgroup_id_x 1
		.amdhsa_system_sgpr_workgroup_id_y 0
		.amdhsa_system_sgpr_workgroup_id_z 0
		.amdhsa_system_sgpr_workgroup_info 0
		.amdhsa_system_vgpr_workitem_id 0
		.amdhsa_next_free_vgpr 17
		.amdhsa_next_free_sgpr 35
		.amdhsa_reserve_vcc 1
		.amdhsa_reserve_flat_scratch 0
		.amdhsa_float_round_mode_32 0
		.amdhsa_float_round_mode_16_64 0
		.amdhsa_float_denorm_mode_32 3
		.amdhsa_float_denorm_mode_16_64 3
		.amdhsa_dx10_clamp 1
		.amdhsa_ieee_mode 1
		.amdhsa_fp16_overflow 0
		.amdhsa_workgroup_processor_mode 1
		.amdhsa_memory_ordered 1
		.amdhsa_forward_progress 1
		.amdhsa_shared_vgpr_count 0
		.amdhsa_exception_fp_ieee_invalid_op 0
		.amdhsa_exception_fp_denorm_src 0
		.amdhsa_exception_fp_ieee_div_zero 0
		.amdhsa_exception_fp_ieee_overflow 0
		.amdhsa_exception_fp_ieee_underflow 0
		.amdhsa_exception_fp_ieee_inexact 0
		.amdhsa_exception_int_div_zero 0
	.end_amdhsa_kernel
	.section	.text._ZL15concat_f32_contILi1EEvPKfS1_Pfllllll,"axG",@progbits,_ZL15concat_f32_contILi1EEvPKfS1_Pfllllll,comdat
.Lfunc_end1:
	.size	_ZL15concat_f32_contILi1EEvPKfS1_Pfllllll, .Lfunc_end1-_ZL15concat_f32_contILi1EEvPKfS1_Pfllllll
                                        ; -- End function
	.set _ZL15concat_f32_contILi1EEvPKfS1_Pfllllll.num_vgpr, 17
	.set _ZL15concat_f32_contILi1EEvPKfS1_Pfllllll.num_agpr, 0
	.set _ZL15concat_f32_contILi1EEvPKfS1_Pfllllll.numbered_sgpr, 35
	.set _ZL15concat_f32_contILi1EEvPKfS1_Pfllllll.num_named_barrier, 0
	.set _ZL15concat_f32_contILi1EEvPKfS1_Pfllllll.private_seg_size, 0
	.set _ZL15concat_f32_contILi1EEvPKfS1_Pfllllll.uses_vcc, 1
	.set _ZL15concat_f32_contILi1EEvPKfS1_Pfllllll.uses_flat_scratch, 0
	.set _ZL15concat_f32_contILi1EEvPKfS1_Pfllllll.has_dyn_sized_stack, 0
	.set _ZL15concat_f32_contILi1EEvPKfS1_Pfllllll.has_recursion, 0
	.set _ZL15concat_f32_contILi1EEvPKfS1_Pfllllll.has_indirect_call, 0
	.section	.AMDGPU.csdata,"",@progbits
; Kernel info:
; codeLenInByte = 1352
; TotalNumSgprs: 37
; NumVgprs: 17
; ScratchSize: 0
; MemoryBound: 0
; FloatMode: 240
; IeeeMode: 1
; LDSByteSize: 0 bytes/workgroup (compile time only)
; SGPRBlocks: 0
; VGPRBlocks: 2
; NumSGPRsForWavesPerEU: 37
; NumVGPRsForWavesPerEU: 17
; Occupancy: 16
; WaveLimiterHint : 0
; COMPUTE_PGM_RSRC2:SCRATCH_EN: 0
; COMPUTE_PGM_RSRC2:USER_SGPR: 6
; COMPUTE_PGM_RSRC2:TRAP_HANDLER: 0
; COMPUTE_PGM_RSRC2:TGID_X_EN: 1
; COMPUTE_PGM_RSRC2:TGID_Y_EN: 0
; COMPUTE_PGM_RSRC2:TGID_Z_EN: 0
; COMPUTE_PGM_RSRC2:TIDIG_COMP_CNT: 0
	.section	.text._ZL15concat_f32_contILi2EEvPKfS1_Pfllllll,"axG",@progbits,_ZL15concat_f32_contILi2EEvPKfS1_Pfllllll,comdat
	.globl	_ZL15concat_f32_contILi2EEvPKfS1_Pfllllll ; -- Begin function _ZL15concat_f32_contILi2EEvPKfS1_Pfllllll
	.p2align	8
	.type	_ZL15concat_f32_contILi2EEvPKfS1_Pfllllll,@function
_ZL15concat_f32_contILi2EEvPKfS1_Pfllllll: ; @_ZL15concat_f32_contILi2EEvPKfS1_Pfllllll
; %bb.0:
	s_clause 0x1
	s_load_dwordx8 s[8:15], s[4:5], 0x28
	s_load_dword s0, s[4:5], 0x54
	s_waitcnt lgkmcnt(0)
	s_mul_i32 s1, s12, s11
	s_mul_hi_u32 s2, s12, s10
	s_mul_i32 s3, s13, s10
	s_mul_i32 s7, s12, s10
	s_add_i32 s12, s2, s1
	s_mul_i32 s1, s7, s15
	s_mul_hi_u32 s2, s7, s14
	s_add_i32 s12, s12, s3
	s_add_i32 s1, s2, s1
	s_mul_i32 s2, s12, s14
	s_add_i32 s3, s1, s2
	s_add_u32 s10, s4, 0x48
	s_addc_u32 s11, s5, 0
	s_and_b32 s13, s0, 0xffff
	s_mul_i32 s0, s13, s6
	s_mul_hi_u32 s1, s13, s6
	v_add_co_u32 v1, s2, s0, v0
	v_add_co_ci_u32_e64 v2, null, s1, 0, s2
	s_mul_i32 s2, s7, s14
	s_mov_b32 s6, exec_lo
	v_cmpx_gt_i64_e64 s[2:3], v[1:2]
	s_cbranch_execz .LBB2_3
; %bb.1:
	s_load_dword s14, s[10:11], 0x0
	s_clause 0x1
	s_load_dwordx4 s[16:19], s[4:5], 0x0
	s_load_dwordx2 s[10:11], s[4:5], 0x10
	s_mul_i32 s5, s7, s9
	s_mul_hi_u32 s6, s7, s8
	s_mul_i32 s12, s12, s8
	s_add_i32 s5, s6, s5
	v_lshlrev_b32_e32 v6, 2, v0
	s_mul_i32 s4, s7, s8
	s_add_i32 s5, s5, s12
	s_mov_b32 s12, 0
	s_lshl_b64 s[6:7], s[4:5], 2
	s_lshl_b64 s[8:9], s[0:1], 2
	v_sub_co_u32 v0, s6, v6, s6
	v_sub_co_ci_u32_e64 v3, null, 0, s7, s6
	s_waitcnt lgkmcnt(0)
	s_mul_hi_u32 s7, s13, s14
	v_add_co_u32 v4, s6, s16, v6
	v_add_co_u32 v0, vcc_lo, s18, v0
	v_add_co_ci_u32_e64 v5, null, s17, 0, s6
	v_add_co_u32 v6, s6, s10, v6
	v_add_co_ci_u32_e64 v3, null, s19, v3, vcc_lo
	v_add_co_ci_u32_e64 v7, null, s11, 0, s6
	s_mul_i32 s6, s13, s14
	s_lshl_b64 s[10:11], s[6:7], 2
	.p2align	6
.LBB2_2:                                ; =>This Inner Loop Header: Depth=1
	v_add_co_u32 v8, vcc_lo, v4, s8
	v_add_co_ci_u32_e64 v9, null, s9, v5, vcc_lo
	v_add_co_u32 v10, vcc_lo, v0, s8
	v_add_co_ci_u32_e64 v11, null, s9, v3, vcc_lo
	v_cmp_gt_i64_e32 vcc_lo, s[4:5], v[1:2]
	v_cndmask_b32_e32 v9, v11, v9, vcc_lo
	v_cndmask_b32_e32 v8, v10, v8, vcc_lo
	v_add_co_u32 v1, vcc_lo, v1, s6
	v_add_co_ci_u32_e64 v2, null, s7, v2, vcc_lo
	global_load_dword v10, v[8:9], off
	v_add_co_u32 v8, s0, v6, s8
	v_cmp_le_i64_e32 vcc_lo, s[2:3], v[1:2]
	v_add_co_ci_u32_e64 v9, null, s9, v7, s0
	s_add_u32 s8, s8, s10
	s_addc_u32 s9, s9, s11
	s_or_b32 s12, vcc_lo, s12
	s_waitcnt vmcnt(0)
	global_store_dword v[8:9], v10, off
	s_andn2_b32 exec_lo, exec_lo, s12
	s_cbranch_execnz .LBB2_2
.LBB2_3:
	s_endpgm
	.section	.rodata,"a",@progbits
	.p2align	6, 0x0
	.amdhsa_kernel _ZL15concat_f32_contILi2EEvPKfS1_Pfllllll
		.amdhsa_group_segment_fixed_size 0
		.amdhsa_private_segment_fixed_size 0
		.amdhsa_kernarg_size 328
		.amdhsa_user_sgpr_count 6
		.amdhsa_user_sgpr_private_segment_buffer 1
		.amdhsa_user_sgpr_dispatch_ptr 0
		.amdhsa_user_sgpr_queue_ptr 0
		.amdhsa_user_sgpr_kernarg_segment_ptr 1
		.amdhsa_user_sgpr_dispatch_id 0
		.amdhsa_user_sgpr_flat_scratch_init 0
		.amdhsa_user_sgpr_private_segment_size 0
		.amdhsa_wavefront_size32 1
		.amdhsa_uses_dynamic_stack 0
		.amdhsa_system_sgpr_private_segment_wavefront_offset 0
		.amdhsa_system_sgpr_workgroup_id_x 1
		.amdhsa_system_sgpr_workgroup_id_y 0
		.amdhsa_system_sgpr_workgroup_id_z 0
		.amdhsa_system_sgpr_workgroup_info 0
		.amdhsa_system_vgpr_workitem_id 0
		.amdhsa_next_free_vgpr 12
		.amdhsa_next_free_sgpr 20
		.amdhsa_reserve_vcc 1
		.amdhsa_reserve_flat_scratch 0
		.amdhsa_float_round_mode_32 0
		.amdhsa_float_round_mode_16_64 0
		.amdhsa_float_denorm_mode_32 3
		.amdhsa_float_denorm_mode_16_64 3
		.amdhsa_dx10_clamp 1
		.amdhsa_ieee_mode 1
		.amdhsa_fp16_overflow 0
		.amdhsa_workgroup_processor_mode 1
		.amdhsa_memory_ordered 1
		.amdhsa_forward_progress 1
		.amdhsa_shared_vgpr_count 0
		.amdhsa_exception_fp_ieee_invalid_op 0
		.amdhsa_exception_fp_denorm_src 0
		.amdhsa_exception_fp_ieee_div_zero 0
		.amdhsa_exception_fp_ieee_overflow 0
		.amdhsa_exception_fp_ieee_underflow 0
		.amdhsa_exception_fp_ieee_inexact 0
		.amdhsa_exception_int_div_zero 0
	.end_amdhsa_kernel
	.section	.text._ZL15concat_f32_contILi2EEvPKfS1_Pfllllll,"axG",@progbits,_ZL15concat_f32_contILi2EEvPKfS1_Pfllllll,comdat
.Lfunc_end2:
	.size	_ZL15concat_f32_contILi2EEvPKfS1_Pfllllll, .Lfunc_end2-_ZL15concat_f32_contILi2EEvPKfS1_Pfllllll
                                        ; -- End function
	.set _ZL15concat_f32_contILi2EEvPKfS1_Pfllllll.num_vgpr, 12
	.set _ZL15concat_f32_contILi2EEvPKfS1_Pfllllll.num_agpr, 0
	.set _ZL15concat_f32_contILi2EEvPKfS1_Pfllllll.numbered_sgpr, 20
	.set _ZL15concat_f32_contILi2EEvPKfS1_Pfllllll.num_named_barrier, 0
	.set _ZL15concat_f32_contILi2EEvPKfS1_Pfllllll.private_seg_size, 0
	.set _ZL15concat_f32_contILi2EEvPKfS1_Pfllllll.uses_vcc, 1
	.set _ZL15concat_f32_contILi2EEvPKfS1_Pfllllll.uses_flat_scratch, 0
	.set _ZL15concat_f32_contILi2EEvPKfS1_Pfllllll.has_dyn_sized_stack, 0
	.set _ZL15concat_f32_contILi2EEvPKfS1_Pfllllll.has_recursion, 0
	.set _ZL15concat_f32_contILi2EEvPKfS1_Pfllllll.has_indirect_call, 0
	.section	.AMDGPU.csdata,"",@progbits
; Kernel info:
; codeLenInByte = 444
; TotalNumSgprs: 22
; NumVgprs: 12
; ScratchSize: 0
; MemoryBound: 0
; FloatMode: 240
; IeeeMode: 1
; LDSByteSize: 0 bytes/workgroup (compile time only)
; SGPRBlocks: 0
; VGPRBlocks: 1
; NumSGPRsForWavesPerEU: 22
; NumVGPRsForWavesPerEU: 12
; Occupancy: 16
; WaveLimiterHint : 0
; COMPUTE_PGM_RSRC2:SCRATCH_EN: 0
; COMPUTE_PGM_RSRC2:USER_SGPR: 6
; COMPUTE_PGM_RSRC2:TRAP_HANDLER: 0
; COMPUTE_PGM_RSRC2:TGID_X_EN: 1
; COMPUTE_PGM_RSRC2:TGID_Y_EN: 0
; COMPUTE_PGM_RSRC2:TGID_Z_EN: 0
; COMPUTE_PGM_RSRC2:TIDIG_COMP_CNT: 0
	.section	.text._ZL19concat_f32_non_contILi0EEvPKcS1_Pcllllmmmmllllmmmmllllmmmm,"axG",@progbits,_ZL19concat_f32_non_contILi0EEvPKcS1_Pcllllmmmmllllmmmmllllmmmm,comdat
	.globl	_ZL19concat_f32_non_contILi0EEvPKcS1_Pcllllmmmmllllmmmmllllmmmm ; -- Begin function _ZL19concat_f32_non_contILi0EEvPKcS1_Pcllllmmmmllllmmmmllllmmmm
	.p2align	8
	.type	_ZL19concat_f32_non_contILi0EEvPKcS1_Pcllllmmmmllllmmmmllllmmmm,@function
_ZL19concat_f32_non_contILi0EEvPKcS1_Pcllllmmmmllllmmmmllllmmmm: ; @_ZL19concat_f32_non_contILi0EEvPKcS1_Pcllllmmmmllllmmmmllllmmmm
; %bb.0:
	s_load_dwordx2 s[10:11], s[4:5], 0x98
	v_mov_b32_e32 v1, 0
	s_mov_b32 s0, exec_lo
	s_waitcnt lgkmcnt(0)
	v_cmpx_gt_i64_e64 s[10:11], v[0:1]
	s_cbranch_execz .LBB3_5
; %bb.1:
	s_clause 0x3
	s_load_dwordx16 s[12:27], s[4:5], 0x0
	s_load_dwordx8 s[36:43], s[4:5], 0x78
	s_load_dwordx2 s[30:31], s[4:5], 0x50
	s_load_dwordx4 s[0:3], s[4:5], 0x40
	s_mov_b32 s28, s7
	s_mov_b32 s7, 0
	s_load_dwordx8 s[44:51], s[4:5], 0xb8
	s_mov_b32 s29, s7
	s_mov_b32 s9, s7
	s_load_dword s4, s[4:5], 0xe4
	s_waitcnt lgkmcnt(0)
	v_cmp_gt_i64_e64 s20, s[20:21], s[6:7]
	v_cmp_gt_i64_e64 s21, s[22:23], s[28:29]
	;; [unrolled: 1-line block ×3, first 2 shown]
	s_mul_i32 s22, s43, s8
	s_mul_hi_u32 s23, s42, s8
	s_mul_i32 s24, s42, s8
	s_mul_i32 s25, s41, s28
	s_and_b32 s20, s20, s21
	s_mul_hi_u32 s29, s40, s28
	s_add_i32 s23, s23, s22
	s_and_b32 s9, s20, s9
	s_mul_i32 s33, s40, s28
	s_add_u32 s14, s14, s24
	s_mul_i32 s34, s39, s6
	s_mul_hi_u32 s35, s38, s6
	s_addc_u32 s15, s15, s23
	s_add_i32 s29, s29, s25
	s_mul_i32 s38, s38, s6
	s_add_u32 s14, s14, s33
	s_mul_i32 s3, s3, s28
	s_addc_u32 s15, s15, s29
	s_add_i32 s35, s35, s34
	s_mul_hi_u32 s20, s2, s28
	s_add_u32 s14, s14, s38
	s_addc_u32 s15, s15, s35
	s_add_i32 s20, s20, s3
	s_mul_i32 s1, s1, s6
	s_mul_hi_u32 s3, s0, s6
	s_mul_hi_u32 s21, s50, s8
	s_add_i32 s3, s3, s1
	s_mul_i32 s1, s51, s8
	s_mul_hi_u32 s22, s48, s28
	s_add_i32 s21, s21, s1
	s_mul_i32 s1, s49, s28
	s_mul_i32 s31, s31, s8
	s_mul_hi_u32 s39, s30, s8
	s_add_i32 s22, s22, s1
	s_mul_i32 s1, s47, s6
	s_mul_hi_u32 s23, s46, s6
	s_mul_i32 s5, s30, s8
	s_mul_i32 s2, s2, s28
	s_add_i32 s39, s39, s31
	s_add_i32 s23, s23, s1
	s_and_b32 s1, s4, 0xffff
	s_mul_i32 s0, s0, s6
	s_add_u32 s2, s5, s2
	s_addc_u32 s4, s39, s20
	s_add_u32 s0, s2, s0
	s_addc_u32 s3, s4, s3
	s_add_u32 s2, s12, s0
	s_addc_u32 s3, s13, s3
	s_mul_i32 s0, s27, s1
	s_mul_hi_u32 s4, s26, s1
	s_mul_i32 s8, s50, s8
	s_mul_i32 s24, s48, s28
	v_mad_u64_u32 v[2:3], null, s26, v0, s[2:3]
	s_add_i32 s2, s4, s0
	s_mul_i32 s6, s46, s6
	s_add_u32 s0, s8, s24
	s_addc_u32 s3, s21, s22
	s_add_u32 s0, s0, s6
	s_addc_u32 s3, s3, s23
	;; [unrolled: 2-line block ×3, first 2 shown]
	s_mul_i32 s0, s45, s1
	v_mad_u64_u32 v[4:5], null, s44, v0, s[4:5]
	s_mul_hi_u32 s4, s44, s1
	s_mul_i32 s3, s26, s1
	s_add_i32 s4, s4, s0
	s_mul_i32 s5, s44, s1
	s_xor_b32 s6, s9, -1
	v_mad_u64_u32 v[6:7], null, s27, v0, v[3:4]
	v_mad_u64_u32 v[7:8], null, s45, v0, v[5:6]
	v_mov_b32_e32 v3, v6
	v_mov_b32_e32 v5, v7
	s_inst_prefetch 0x1
	s_branch .LBB3_3
	.p2align	6
.LBB3_2:                                ;   in Loop: Header=BB3_3 Depth=1
	s_or_b32 exec_lo, exec_lo, s0
	global_load_dword v6, v[6:7], off
	v_add_co_u32 v0, vcc_lo, v0, s1
	v_add_co_ci_u32_e64 v1, null, 0, v1, vcc_lo
	v_add_co_u32 v2, vcc_lo, v2, s3
	v_add_co_ci_u32_e64 v3, null, s2, v3, vcc_lo
	v_cmp_le_i64_e32 vcc_lo, s[10:11], v[0:1]
	s_or_b32 s7, vcc_lo, s7
	s_waitcnt vmcnt(0)
	global_store_dword v[4:5], v6, off
	v_add_co_u32 v4, s0, v4, s5
	v_add_co_ci_u32_e64 v5, null, s4, v5, s0
	s_andn2_b32 exec_lo, exec_lo, s7
	s_cbranch_execz .LBB3_5
.LBB3_3:                                ; =>This Inner Loop Header: Depth=1
	v_cmp_le_i64_e32 vcc_lo, s[18:19], v[0:1]
	v_mov_b32_e32 v7, v3
	v_mov_b32_e32 v6, v2
	s_or_b32 s8, vcc_lo, s6
	s_and_saveexec_b32 s0, s8
	s_cbranch_execz .LBB3_2
; %bb.4:                                ;   in Loop: Header=BB3_3 Depth=1
	v_sub_co_u32 v6, vcc_lo, v0, s18
	v_subrev_co_ci_u32_e64 v7, null, s19, v1, vcc_lo
	v_mul_lo_u32 v8, v6, s37
	v_mul_lo_u32 v9, v7, s36
	v_mad_u64_u32 v[6:7], null, v6, s36, s[14:15]
	v_add3_u32 v7, v9, v7, v8
	s_branch .LBB3_2
.LBB3_5:
	s_inst_prefetch 0x2
	s_endpgm
	.section	.rodata,"a",@progbits
	.p2align	6, 0x0
	.amdhsa_kernel _ZL19concat_f32_non_contILi0EEvPKcS1_Pcllllmmmmllllmmmmllllmmmm
		.amdhsa_group_segment_fixed_size 0
		.amdhsa_private_segment_fixed_size 0
		.amdhsa_kernarg_size 472
		.amdhsa_user_sgpr_count 6
		.amdhsa_user_sgpr_private_segment_buffer 1
		.amdhsa_user_sgpr_dispatch_ptr 0
		.amdhsa_user_sgpr_queue_ptr 0
		.amdhsa_user_sgpr_kernarg_segment_ptr 1
		.amdhsa_user_sgpr_dispatch_id 0
		.amdhsa_user_sgpr_flat_scratch_init 0
		.amdhsa_user_sgpr_private_segment_size 0
		.amdhsa_wavefront_size32 1
		.amdhsa_uses_dynamic_stack 0
		.amdhsa_system_sgpr_private_segment_wavefront_offset 0
		.amdhsa_system_sgpr_workgroup_id_x 1
		.amdhsa_system_sgpr_workgroup_id_y 1
		.amdhsa_system_sgpr_workgroup_id_z 1
		.amdhsa_system_sgpr_workgroup_info 0
		.amdhsa_system_vgpr_workitem_id 0
		.amdhsa_next_free_vgpr 10
		.amdhsa_next_free_sgpr 52
		.amdhsa_reserve_vcc 1
		.amdhsa_reserve_flat_scratch 0
		.amdhsa_float_round_mode_32 0
		.amdhsa_float_round_mode_16_64 0
		.amdhsa_float_denorm_mode_32 3
		.amdhsa_float_denorm_mode_16_64 3
		.amdhsa_dx10_clamp 1
		.amdhsa_ieee_mode 1
		.amdhsa_fp16_overflow 0
		.amdhsa_workgroup_processor_mode 1
		.amdhsa_memory_ordered 1
		.amdhsa_forward_progress 1
		.amdhsa_shared_vgpr_count 0
		.amdhsa_exception_fp_ieee_invalid_op 0
		.amdhsa_exception_fp_denorm_src 0
		.amdhsa_exception_fp_ieee_div_zero 0
		.amdhsa_exception_fp_ieee_overflow 0
		.amdhsa_exception_fp_ieee_underflow 0
		.amdhsa_exception_fp_ieee_inexact 0
		.amdhsa_exception_int_div_zero 0
	.end_amdhsa_kernel
	.section	.text._ZL19concat_f32_non_contILi0EEvPKcS1_Pcllllmmmmllllmmmmllllmmmm,"axG",@progbits,_ZL19concat_f32_non_contILi0EEvPKcS1_Pcllllmmmmllllmmmmllllmmmm,comdat
.Lfunc_end3:
	.size	_ZL19concat_f32_non_contILi0EEvPKcS1_Pcllllmmmmllllmmmmllllmmmm, .Lfunc_end3-_ZL19concat_f32_non_contILi0EEvPKcS1_Pcllllmmmmllllmmmmllllmmmm
                                        ; -- End function
	.set _ZL19concat_f32_non_contILi0EEvPKcS1_Pcllllmmmmllllmmmmllllmmmm.num_vgpr, 10
	.set _ZL19concat_f32_non_contILi0EEvPKcS1_Pcllllmmmmllllmmmmllllmmmm.num_agpr, 0
	.set _ZL19concat_f32_non_contILi0EEvPKcS1_Pcllllmmmmllllmmmmllllmmmm.numbered_sgpr, 52
	.set _ZL19concat_f32_non_contILi0EEvPKcS1_Pcllllmmmmllllmmmmllllmmmm.num_named_barrier, 0
	.set _ZL19concat_f32_non_contILi0EEvPKcS1_Pcllllmmmmllllmmmmllllmmmm.private_seg_size, 0
	.set _ZL19concat_f32_non_contILi0EEvPKcS1_Pcllllmmmmllllmmmmllllmmmm.uses_vcc, 1
	.set _ZL19concat_f32_non_contILi0EEvPKcS1_Pcllllmmmmllllmmmmllllmmmm.uses_flat_scratch, 0
	.set _ZL19concat_f32_non_contILi0EEvPKcS1_Pcllllmmmmllllmmmmllllmmmm.has_dyn_sized_stack, 0
	.set _ZL19concat_f32_non_contILi0EEvPKcS1_Pcllllmmmmllllmmmmllllmmmm.has_recursion, 0
	.set _ZL19concat_f32_non_contILi0EEvPKcS1_Pcllllmmmmllllmmmmllllmmmm.has_indirect_call, 0
	.section	.AMDGPU.csdata,"",@progbits
; Kernel info:
; codeLenInByte = 620
; TotalNumSgprs: 54
; NumVgprs: 10
; ScratchSize: 0
; MemoryBound: 0
; FloatMode: 240
; IeeeMode: 1
; LDSByteSize: 0 bytes/workgroup (compile time only)
; SGPRBlocks: 0
; VGPRBlocks: 1
; NumSGPRsForWavesPerEU: 54
; NumVGPRsForWavesPerEU: 10
; Occupancy: 16
; WaveLimiterHint : 1
; COMPUTE_PGM_RSRC2:SCRATCH_EN: 0
; COMPUTE_PGM_RSRC2:USER_SGPR: 6
; COMPUTE_PGM_RSRC2:TRAP_HANDLER: 0
; COMPUTE_PGM_RSRC2:TGID_X_EN: 1
; COMPUTE_PGM_RSRC2:TGID_Y_EN: 1
; COMPUTE_PGM_RSRC2:TGID_Z_EN: 1
; COMPUTE_PGM_RSRC2:TIDIG_COMP_CNT: 0
	.section	.text._ZL19concat_f32_non_contILi1EEvPKcS1_Pcllllmmmmllllmmmmllllmmmm,"axG",@progbits,_ZL19concat_f32_non_contILi1EEvPKcS1_Pcllllmmmmllllmmmmllllmmmm,comdat
	.globl	_ZL19concat_f32_non_contILi1EEvPKcS1_Pcllllmmmmllllmmmmllllmmmm ; -- Begin function _ZL19concat_f32_non_contILi1EEvPKcS1_Pcllllmmmmllllmmmmllllmmmm
	.p2align	8
	.type	_ZL19concat_f32_non_contILi1EEvPKcS1_Pcllllmmmmllllmmmmllllmmmm,@function
_ZL19concat_f32_non_contILi1EEvPKcS1_Pcllllmmmmllllmmmmllllmmmm: ; @_ZL19concat_f32_non_contILi1EEvPKcS1_Pcllllmmmmllllmmmmllllmmmm
; %bb.0:
	s_load_dwordx2 s[10:11], s[4:5], 0x98
	v_mov_b32_e32 v1, 0
	s_mov_b32 s0, exec_lo
	s_waitcnt lgkmcnt(0)
	v_cmpx_gt_i64_e64 s[10:11], v[0:1]
	s_cbranch_execz .LBB4_3
; %bb.1:
	s_clause 0x3
	s_load_dwordx16 s[12:27], s[4:5], 0x0
	s_load_dwordx8 s[36:43], s[4:5], 0x78
	s_load_dwordx2 s[30:31], s[4:5], 0x50
	s_load_dwordx4 s[0:3], s[4:5], 0x40
	s_mov_b32 s28, s7
	s_mov_b32 s7, 0
	s_load_dwordx8 s[44:51], s[4:5], 0xb8
	s_mov_b32 s29, s7
	s_mov_b32 s9, s7
	s_load_dword s4, s[4:5], 0xe4
	s_waitcnt lgkmcnt(0)
	v_cmp_gt_i64_e64 s22, s[22:23], s[28:29]
	v_cmp_gt_i64_e64 s9, s[24:25], s[8:9]
	v_cmp_lt_i64_e64 s33, s[6:7], s[20:21]
	s_mul_i32 s23, s43, s8
	s_mul_hi_u32 s24, s42, s8
	s_mul_i32 s25, s42, s8
	s_mul_hi_u32 s42, s2, s28
	s_mul_i32 s43, s2, s28
	s_and_b32 s2, s22, s9
	s_mul_i32 s29, s41, s28
	s_mul_hi_u32 s34, s40, s28
	s_add_i32 s24, s24, s23
	s_and_b32 s2, s2, s33
	s_mul_i32 s35, s40, s28
	s_mul_i32 s41, s3, s28
	s_add_u32 s3, s14, s25
	s_addc_u32 s9, s15, s24
	s_add_i32 s34, s34, s29
	s_add_u32 s3, s3, s35
	s_addc_u32 s9, s9, s34
	s_sub_u32 s14, s6, s20
	s_subb_u32 s15, 0, s21
	s_mul_hi_u32 s20, s38, s14
	s_mul_i32 s15, s38, s15
	s_mul_i32 s21, s39, s14
	s_add_i32 s15, s20, s15
	s_mul_i32 s14, s38, s14
	s_mul_i32 s31, s31, s8
	s_mul_hi_u32 s40, s30, s8
	s_add_i32 s15, s15, s21
	s_mul_i32 s30, s30, s8
	s_add_u32 s3, s3, s14
	s_addc_u32 s9, s9, s15
	s_add_i32 s40, s40, s31
	s_add_u32 s12, s12, s30
	s_addc_u32 s13, s13, s40
	s_add_i32 s42, s42, s41
	s_add_u32 s12, s12, s43
	s_addc_u32 s5, s13, s42
	s_mul_i32 s1, s1, s6
	s_mul_hi_u32 s13, s0, s6
	s_mul_i32 s0, s0, s6
	s_add_i32 s13, s13, s1
	s_add_u32 s0, s12, s0
	s_mul_i32 s1, s51, s8
	s_mul_hi_u32 s12, s50, s8
	s_addc_u32 s13, s5, s13
	s_add_i32 s12, s12, s1
	s_mul_i32 s1, s49, s28
	s_mul_hi_u32 s5, s48, s28
	s_mul_hi_u32 s14, s46, s6
	s_add_i32 s5, s5, s1
	s_mul_i32 s1, s47, s6
	s_mul_i32 s8, s50, s8
	;; [unrolled: 1-line block ×3, first 2 shown]
	s_add_i32 s14, s14, s1
	s_and_b32 s1, s4, 0xffff
	s_mul_i32 s6, s46, s6
	s_add_u32 s4, s8, s15
	s_addc_u32 s5, s12, s5
	s_add_u32 s4, s4, s6
	s_addc_u32 s5, s5, s14
	;; [unrolled: 2-line block ×3, first 2 shown]
	v_mov_b32_e32 v5, s26
	v_mad_u64_u32 v[2:3], null, s44, v0, s[4:5]
	v_mov_b32_e32 v6, s13
	v_mov_b32_e32 v7, s0
	s_mul_i32 s4, s45, s1
	s_mul_hi_u32 s5, s44, s1
	s_add_i32 s4, s5, s4
	v_mad_u64_u32 v[3:4], null, s45, v0, v[3:4]
	v_mov_b32_e32 v4, s27
	s_mul_i32 s5, s44, s1
	.p2align	6
.LBB4_2:                                ; =>This Inner Loop Header: Depth=1
	v_cmp_gt_i64_e32 vcc_lo, s[18:19], v[0:1]
	s_and_b32 vcc_lo, vcc_lo, s2
	v_cndmask_b32_e32 v10, s37, v4, vcc_lo
	v_cndmask_b32_e32 v11, s36, v5, vcc_lo
	;; [unrolled: 1-line block ×4, first 2 shown]
	v_mul_lo_u32 v10, v0, v10
	v_mad_u64_u32 v[8:9], null, v0, v11, v[8:9]
	v_mul_lo_u32 v11, v1, v11
	v_add_co_u32 v0, vcc_lo, v0, s1
	v_add_co_ci_u32_e64 v1, null, 0, v1, vcc_lo
	v_add3_u32 v9, v11, v9, v10
	v_cmp_le_i64_e32 vcc_lo, s[10:11], v[0:1]
	global_load_dword v8, v[8:9], off
	s_or_b32 s7, vcc_lo, s7
	s_waitcnt vmcnt(0)
	global_store_dword v[2:3], v8, off
	v_add_co_u32 v2, s0, v2, s5
	v_add_co_ci_u32_e64 v3, null, s4, v3, s0
	s_andn2_b32 exec_lo, exec_lo, s7
	s_cbranch_execnz .LBB4_2
.LBB4_3:
	s_endpgm
	.section	.rodata,"a",@progbits
	.p2align	6, 0x0
	.amdhsa_kernel _ZL19concat_f32_non_contILi1EEvPKcS1_Pcllllmmmmllllmmmmllllmmmm
		.amdhsa_group_segment_fixed_size 0
		.amdhsa_private_segment_fixed_size 0
		.amdhsa_kernarg_size 472
		.amdhsa_user_sgpr_count 6
		.amdhsa_user_sgpr_private_segment_buffer 1
		.amdhsa_user_sgpr_dispatch_ptr 0
		.amdhsa_user_sgpr_queue_ptr 0
		.amdhsa_user_sgpr_kernarg_segment_ptr 1
		.amdhsa_user_sgpr_dispatch_id 0
		.amdhsa_user_sgpr_flat_scratch_init 0
		.amdhsa_user_sgpr_private_segment_size 0
		.amdhsa_wavefront_size32 1
		.amdhsa_uses_dynamic_stack 0
		.amdhsa_system_sgpr_private_segment_wavefront_offset 0
		.amdhsa_system_sgpr_workgroup_id_x 1
		.amdhsa_system_sgpr_workgroup_id_y 1
		.amdhsa_system_sgpr_workgroup_id_z 1
		.amdhsa_system_sgpr_workgroup_info 0
		.amdhsa_system_vgpr_workitem_id 0
		.amdhsa_next_free_vgpr 12
		.amdhsa_next_free_sgpr 52
		.amdhsa_reserve_vcc 1
		.amdhsa_reserve_flat_scratch 0
		.amdhsa_float_round_mode_32 0
		.amdhsa_float_round_mode_16_64 0
		.amdhsa_float_denorm_mode_32 3
		.amdhsa_float_denorm_mode_16_64 3
		.amdhsa_dx10_clamp 1
		.amdhsa_ieee_mode 1
		.amdhsa_fp16_overflow 0
		.amdhsa_workgroup_processor_mode 1
		.amdhsa_memory_ordered 1
		.amdhsa_forward_progress 1
		.amdhsa_shared_vgpr_count 0
		.amdhsa_exception_fp_ieee_invalid_op 0
		.amdhsa_exception_fp_denorm_src 0
		.amdhsa_exception_fp_ieee_div_zero 0
		.amdhsa_exception_fp_ieee_overflow 0
		.amdhsa_exception_fp_ieee_underflow 0
		.amdhsa_exception_fp_ieee_inexact 0
		.amdhsa_exception_int_div_zero 0
	.end_amdhsa_kernel
	.section	.text._ZL19concat_f32_non_contILi1EEvPKcS1_Pcllllmmmmllllmmmmllllmmmm,"axG",@progbits,_ZL19concat_f32_non_contILi1EEvPKcS1_Pcllllmmmmllllmmmmllllmmmm,comdat
.Lfunc_end4:
	.size	_ZL19concat_f32_non_contILi1EEvPKcS1_Pcllllmmmmllllmmmmllllmmmm, .Lfunc_end4-_ZL19concat_f32_non_contILi1EEvPKcS1_Pcllllmmmmllllmmmmllllmmmm
                                        ; -- End function
	.set _ZL19concat_f32_non_contILi1EEvPKcS1_Pcllllmmmmllllmmmmllllmmmm.num_vgpr, 12
	.set _ZL19concat_f32_non_contILi1EEvPKcS1_Pcllllmmmmllllmmmmllllmmmm.num_agpr, 0
	.set _ZL19concat_f32_non_contILi1EEvPKcS1_Pcllllmmmmllllmmmmllllmmmm.numbered_sgpr, 52
	.set _ZL19concat_f32_non_contILi1EEvPKcS1_Pcllllmmmmllllmmmmllllmmmm.num_named_barrier, 0
	.set _ZL19concat_f32_non_contILi1EEvPKcS1_Pcllllmmmmllllmmmmllllmmmm.private_seg_size, 0
	.set _ZL19concat_f32_non_contILi1EEvPKcS1_Pcllllmmmmllllmmmmllllmmmm.uses_vcc, 1
	.set _ZL19concat_f32_non_contILi1EEvPKcS1_Pcllllmmmmllllmmmmllllmmmm.uses_flat_scratch, 0
	.set _ZL19concat_f32_non_contILi1EEvPKcS1_Pcllllmmmmllllmmmmllllmmmm.has_dyn_sized_stack, 0
	.set _ZL19concat_f32_non_contILi1EEvPKcS1_Pcllllmmmmllllmmmmllllmmmm.has_recursion, 0
	.set _ZL19concat_f32_non_contILi1EEvPKcS1_Pcllllmmmmllllmmmmllllmmmm.has_indirect_call, 0
	.section	.AMDGPU.csdata,"",@progbits
; Kernel info:
; codeLenInByte = 576
; TotalNumSgprs: 54
; NumVgprs: 12
; ScratchSize: 0
; MemoryBound: 0
; FloatMode: 240
; IeeeMode: 1
; LDSByteSize: 0 bytes/workgroup (compile time only)
; SGPRBlocks: 0
; VGPRBlocks: 1
; NumSGPRsForWavesPerEU: 54
; NumVGPRsForWavesPerEU: 12
; Occupancy: 16
; WaveLimiterHint : 1
; COMPUTE_PGM_RSRC2:SCRATCH_EN: 0
; COMPUTE_PGM_RSRC2:USER_SGPR: 6
; COMPUTE_PGM_RSRC2:TRAP_HANDLER: 0
; COMPUTE_PGM_RSRC2:TGID_X_EN: 1
; COMPUTE_PGM_RSRC2:TGID_Y_EN: 1
; COMPUTE_PGM_RSRC2:TGID_Z_EN: 1
; COMPUTE_PGM_RSRC2:TIDIG_COMP_CNT: 0
	.section	.text._ZL19concat_f32_non_contILi2EEvPKcS1_Pcllllmmmmllllmmmmllllmmmm,"axG",@progbits,_ZL19concat_f32_non_contILi2EEvPKcS1_Pcllllmmmmllllmmmmllllmmmm,comdat
	.globl	_ZL19concat_f32_non_contILi2EEvPKcS1_Pcllllmmmmllllmmmmllllmmmm ; -- Begin function _ZL19concat_f32_non_contILi2EEvPKcS1_Pcllllmmmmllllmmmmllllmmmm
	.p2align	8
	.type	_ZL19concat_f32_non_contILi2EEvPKcS1_Pcllllmmmmllllmmmmllllmmmm,@function
_ZL19concat_f32_non_contILi2EEvPKcS1_Pcllllmmmmllllmmmmllllmmmm: ; @_ZL19concat_f32_non_contILi2EEvPKcS1_Pcllllmmmmllllmmmmllllmmmm
; %bb.0:
	s_load_dwordx2 s[10:11], s[4:5], 0x98
	v_mov_b32_e32 v1, 0
	s_mov_b32 s0, exec_lo
	s_waitcnt lgkmcnt(0)
	v_cmpx_gt_i64_e64 s[10:11], v[0:1]
	s_cbranch_execz .LBB5_3
; %bb.1:
	s_clause 0x3
	s_load_dwordx16 s[12:27], s[4:5], 0x0
	s_load_dwordx8 s[36:43], s[4:5], 0x78
	s_load_dwordx2 s[30:31], s[4:5], 0x50
	s_load_dwordx4 s[0:3], s[4:5], 0x40
	s_mov_b32 s28, s7
	s_mov_b32 s7, 0
	s_load_dwordx8 s[44:51], s[4:5], 0xb8
	s_mov_b32 s9, s7
	s_mov_b32 s29, s7
	s_load_dword s4, s[4:5], 0xe4
	s_waitcnt lgkmcnt(0)
	v_cmp_gt_i64_e64 s20, s[20:21], s[6:7]
	v_cmp_gt_i64_e64 s9, s[24:25], s[8:9]
	v_cmp_lt_i64_e64 s21, s[28:29], s[22:23]
	s_mul_i32 s24, s43, s8
	s_mul_hi_u32 s25, s42, s8
	s_mul_i32 s29, s42, s8
	s_mul_hi_u32 s42, s2, s28
	s_mul_i32 s43, s2, s28
	s_and_b32 s2, s20, s9
	s_add_i32 s25, s25, s24
	s_and_b32 s2, s2, s21
	s_mul_i32 s33, s39, s6
	s_mul_i32 s39, s3, s28
	s_add_u32 s3, s14, s29
	s_addc_u32 s9, s15, s25
	s_sub_u32 s14, s28, s22
	s_subb_u32 s15, 0, s23
	s_mul_hi_u32 s20, s40, s14
	s_mul_i32 s15, s40, s15
	s_mul_i32 s21, s41, s14
	s_add_i32 s15, s20, s15
	s_mul_i32 s14, s40, s14
	s_mul_hi_u32 s34, s38, s6
	s_add_i32 s15, s15, s21
	s_mul_i32 s35, s38, s6
	s_add_u32 s3, s3, s14
	s_mul_i32 s31, s31, s8
	s_mul_hi_u32 s38, s30, s8
	s_addc_u32 s9, s9, s15
	s_add_i32 s34, s34, s33
	s_mul_i32 s30, s30, s8
	s_add_u32 s3, s3, s35
	s_addc_u32 s9, s9, s34
	s_add_i32 s38, s38, s31
	s_add_u32 s12, s12, s30
	s_addc_u32 s13, s13, s38
	s_add_i32 s42, s42, s39
	s_add_u32 s12, s12, s43
	s_addc_u32 s5, s13, s42
	s_mul_i32 s1, s1, s6
	s_mul_hi_u32 s13, s0, s6
	s_mul_i32 s0, s0, s6
	s_add_i32 s13, s13, s1
	s_add_u32 s0, s12, s0
	s_mul_i32 s1, s51, s8
	s_mul_hi_u32 s12, s50, s8
	s_addc_u32 s13, s5, s13
	s_add_i32 s12, s12, s1
	s_mul_i32 s1, s49, s28
	s_mul_hi_u32 s5, s48, s28
	s_mul_hi_u32 s14, s46, s6
	s_add_i32 s5, s5, s1
	s_mul_i32 s1, s47, s6
	s_mul_i32 s8, s50, s8
	s_mul_i32 s15, s48, s28
	s_add_i32 s14, s14, s1
	s_and_b32 s1, s4, 0xffff
	s_mul_i32 s6, s46, s6
	s_add_u32 s4, s8, s15
	s_addc_u32 s5, s12, s5
	s_add_u32 s4, s4, s6
	s_addc_u32 s5, s5, s14
	;; [unrolled: 2-line block ×3, first 2 shown]
	v_mov_b32_e32 v5, s26
	v_mad_u64_u32 v[2:3], null, s44, v0, s[4:5]
	v_mov_b32_e32 v6, s13
	v_mov_b32_e32 v7, s0
	s_mul_i32 s4, s45, s1
	s_mul_hi_u32 s5, s44, s1
	s_add_i32 s4, s5, s4
	v_mad_u64_u32 v[3:4], null, s45, v0, v[3:4]
	v_mov_b32_e32 v4, s27
	s_mul_i32 s5, s44, s1
	.p2align	6
.LBB5_2:                                ; =>This Inner Loop Header: Depth=1
	v_cmp_gt_i64_e32 vcc_lo, s[18:19], v[0:1]
	s_and_b32 vcc_lo, vcc_lo, s2
	v_cndmask_b32_e32 v10, s37, v4, vcc_lo
	v_cndmask_b32_e32 v11, s36, v5, vcc_lo
	;; [unrolled: 1-line block ×4, first 2 shown]
	v_mul_lo_u32 v10, v0, v10
	v_mad_u64_u32 v[8:9], null, v0, v11, v[8:9]
	v_mul_lo_u32 v11, v1, v11
	v_add_co_u32 v0, vcc_lo, v0, s1
	v_add_co_ci_u32_e64 v1, null, 0, v1, vcc_lo
	v_add3_u32 v9, v11, v9, v10
	v_cmp_le_i64_e32 vcc_lo, s[10:11], v[0:1]
	global_load_dword v8, v[8:9], off
	s_or_b32 s7, vcc_lo, s7
	s_waitcnt vmcnt(0)
	global_store_dword v[2:3], v8, off
	v_add_co_u32 v2, s0, v2, s5
	v_add_co_ci_u32_e64 v3, null, s4, v3, s0
	s_andn2_b32 exec_lo, exec_lo, s7
	s_cbranch_execnz .LBB5_2
.LBB5_3:
	s_endpgm
	.section	.rodata,"a",@progbits
	.p2align	6, 0x0
	.amdhsa_kernel _ZL19concat_f32_non_contILi2EEvPKcS1_Pcllllmmmmllllmmmmllllmmmm
		.amdhsa_group_segment_fixed_size 0
		.amdhsa_private_segment_fixed_size 0
		.amdhsa_kernarg_size 472
		.amdhsa_user_sgpr_count 6
		.amdhsa_user_sgpr_private_segment_buffer 1
		.amdhsa_user_sgpr_dispatch_ptr 0
		.amdhsa_user_sgpr_queue_ptr 0
		.amdhsa_user_sgpr_kernarg_segment_ptr 1
		.amdhsa_user_sgpr_dispatch_id 0
		.amdhsa_user_sgpr_flat_scratch_init 0
		.amdhsa_user_sgpr_private_segment_size 0
		.amdhsa_wavefront_size32 1
		.amdhsa_uses_dynamic_stack 0
		.amdhsa_system_sgpr_private_segment_wavefront_offset 0
		.amdhsa_system_sgpr_workgroup_id_x 1
		.amdhsa_system_sgpr_workgroup_id_y 1
		.amdhsa_system_sgpr_workgroup_id_z 1
		.amdhsa_system_sgpr_workgroup_info 0
		.amdhsa_system_vgpr_workitem_id 0
		.amdhsa_next_free_vgpr 12
		.amdhsa_next_free_sgpr 52
		.amdhsa_reserve_vcc 1
		.amdhsa_reserve_flat_scratch 0
		.amdhsa_float_round_mode_32 0
		.amdhsa_float_round_mode_16_64 0
		.amdhsa_float_denorm_mode_32 3
		.amdhsa_float_denorm_mode_16_64 3
		.amdhsa_dx10_clamp 1
		.amdhsa_ieee_mode 1
		.amdhsa_fp16_overflow 0
		.amdhsa_workgroup_processor_mode 1
		.amdhsa_memory_ordered 1
		.amdhsa_forward_progress 1
		.amdhsa_shared_vgpr_count 0
		.amdhsa_exception_fp_ieee_invalid_op 0
		.amdhsa_exception_fp_denorm_src 0
		.amdhsa_exception_fp_ieee_div_zero 0
		.amdhsa_exception_fp_ieee_overflow 0
		.amdhsa_exception_fp_ieee_underflow 0
		.amdhsa_exception_fp_ieee_inexact 0
		.amdhsa_exception_int_div_zero 0
	.end_amdhsa_kernel
	.section	.text._ZL19concat_f32_non_contILi2EEvPKcS1_Pcllllmmmmllllmmmmllllmmmm,"axG",@progbits,_ZL19concat_f32_non_contILi2EEvPKcS1_Pcllllmmmmllllmmmmllllmmmm,comdat
.Lfunc_end5:
	.size	_ZL19concat_f32_non_contILi2EEvPKcS1_Pcllllmmmmllllmmmmllllmmmm, .Lfunc_end5-_ZL19concat_f32_non_contILi2EEvPKcS1_Pcllllmmmmllllmmmmllllmmmm
                                        ; -- End function
	.set _ZL19concat_f32_non_contILi2EEvPKcS1_Pcllllmmmmllllmmmmllllmmmm.num_vgpr, 12
	.set _ZL19concat_f32_non_contILi2EEvPKcS1_Pcllllmmmmllllmmmmllllmmmm.num_agpr, 0
	.set _ZL19concat_f32_non_contILi2EEvPKcS1_Pcllllmmmmllllmmmmllllmmmm.numbered_sgpr, 52
	.set _ZL19concat_f32_non_contILi2EEvPKcS1_Pcllllmmmmllllmmmmllllmmmm.num_named_barrier, 0
	.set _ZL19concat_f32_non_contILi2EEvPKcS1_Pcllllmmmmllllmmmmllllmmmm.private_seg_size, 0
	.set _ZL19concat_f32_non_contILi2EEvPKcS1_Pcllllmmmmllllmmmmllllmmmm.uses_vcc, 1
	.set _ZL19concat_f32_non_contILi2EEvPKcS1_Pcllllmmmmllllmmmmllllmmmm.uses_flat_scratch, 0
	.set _ZL19concat_f32_non_contILi2EEvPKcS1_Pcllllmmmmllllmmmmllllmmmm.has_dyn_sized_stack, 0
	.set _ZL19concat_f32_non_contILi2EEvPKcS1_Pcllllmmmmllllmmmmllllmmmm.has_recursion, 0
	.set _ZL19concat_f32_non_contILi2EEvPKcS1_Pcllllmmmmllllmmmmllllmmmm.has_indirect_call, 0
	.section	.AMDGPU.csdata,"",@progbits
; Kernel info:
; codeLenInByte = 576
; TotalNumSgprs: 54
; NumVgprs: 12
; ScratchSize: 0
; MemoryBound: 0
; FloatMode: 240
; IeeeMode: 1
; LDSByteSize: 0 bytes/workgroup (compile time only)
; SGPRBlocks: 0
; VGPRBlocks: 1
; NumSGPRsForWavesPerEU: 54
; NumVGPRsForWavesPerEU: 12
; Occupancy: 16
; WaveLimiterHint : 1
; COMPUTE_PGM_RSRC2:SCRATCH_EN: 0
; COMPUTE_PGM_RSRC2:USER_SGPR: 6
; COMPUTE_PGM_RSRC2:TRAP_HANDLER: 0
; COMPUTE_PGM_RSRC2:TGID_X_EN: 1
; COMPUTE_PGM_RSRC2:TGID_Y_EN: 1
; COMPUTE_PGM_RSRC2:TGID_Z_EN: 1
; COMPUTE_PGM_RSRC2:TIDIG_COMP_CNT: 0
	.section	.text._ZL19concat_f32_non_contILi3EEvPKcS1_Pcllllmmmmllllmmmmllllmmmm,"axG",@progbits,_ZL19concat_f32_non_contILi3EEvPKcS1_Pcllllmmmmllllmmmmllllmmmm,comdat
	.globl	_ZL19concat_f32_non_contILi3EEvPKcS1_Pcllllmmmmllllmmmmllllmmmm ; -- Begin function _ZL19concat_f32_non_contILi3EEvPKcS1_Pcllllmmmmllllmmmmllllmmmm
	.p2align	8
	.type	_ZL19concat_f32_non_contILi3EEvPKcS1_Pcllllmmmmllllmmmmllllmmmm,@function
_ZL19concat_f32_non_contILi3EEvPKcS1_Pcllllmmmmllllmmmmllllmmmm: ; @_ZL19concat_f32_non_contILi3EEvPKcS1_Pcllllmmmmllllmmmmllllmmmm
; %bb.0:
	s_load_dwordx2 s[10:11], s[4:5], 0x98
	v_mov_b32_e32 v1, 0
	s_mov_b32 s0, exec_lo
	s_waitcnt lgkmcnt(0)
	v_cmpx_gt_i64_e64 s[10:11], v[0:1]
	s_cbranch_execz .LBB6_3
; %bb.1:
	s_clause 0x3
	s_load_dwordx16 s[12:27], s[4:5], 0x0
	s_load_dwordx8 s[36:43], s[4:5], 0x78
	s_load_dwordx2 s[30:31], s[4:5], 0x50
	s_load_dwordx4 s[0:3], s[4:5], 0x40
	s_mov_b32 s28, s7
	s_mov_b32 s7, 0
	s_load_dwordx8 s[44:51], s[4:5], 0xb8
	s_mov_b32 s29, s7
	s_mov_b32 s9, s7
	s_load_dword s4, s[4:5], 0xe4
	s_waitcnt lgkmcnt(0)
	v_cmp_gt_i64_e64 s20, s[20:21], s[6:7]
	v_cmp_gt_i64_e64 s21, s[22:23], s[28:29]
	v_cmp_lt_i64_e64 s9, s[8:9], s[24:25]
	s_mul_i32 s33, s39, s6
	s_mul_i32 s39, s3, s28
	s_mul_hi_u32 s23, s40, s28
	s_mul_i32 s29, s40, s28
	s_and_b32 s3, s20, s21
	s_mul_hi_u32 s40, s2, s28
	s_mul_i32 s20, s2, s28
	s_and_b32 s2, s3, s9
	s_sub_u32 s3, s8, s24
	s_subb_u32 s9, 0, s25
	s_mul_hi_u32 s21, s42, s3
	s_mul_i32 s9, s42, s9
	s_mul_i32 s24, s43, s3
	s_add_i32 s9, s21, s9
	s_mul_i32 s3, s42, s3
	s_mul_i32 s22, s41, s28
	s_add_i32 s9, s9, s24
	s_add_u32 s3, s14, s3
	s_mul_hi_u32 s34, s38, s6
	s_addc_u32 s9, s15, s9
	s_add_i32 s23, s23, s22
	s_mul_i32 s35, s38, s6
	s_add_u32 s3, s3, s29
	s_mul_i32 s31, s31, s8
	s_mul_hi_u32 s38, s30, s8
	s_addc_u32 s9, s9, s23
	s_add_i32 s34, s34, s33
	s_mul_i32 s30, s30, s8
	s_add_u32 s3, s3, s35
	s_addc_u32 s9, s9, s34
	s_add_i32 s38, s38, s31
	s_add_u32 s12, s12, s30
	s_addc_u32 s13, s13, s38
	s_add_i32 s40, s40, s39
	s_add_u32 s12, s12, s20
	s_addc_u32 s5, s13, s40
	s_mul_i32 s1, s1, s6
	s_mul_hi_u32 s13, s0, s6
	s_mul_i32 s0, s0, s6
	s_add_i32 s13, s13, s1
	s_add_u32 s0, s12, s0
	s_mul_i32 s1, s51, s8
	s_mul_hi_u32 s12, s50, s8
	s_addc_u32 s13, s5, s13
	s_add_i32 s12, s12, s1
	s_mul_i32 s1, s49, s28
	s_mul_hi_u32 s5, s48, s28
	s_mul_hi_u32 s14, s46, s6
	s_add_i32 s5, s5, s1
	s_mul_i32 s1, s47, s6
	s_mul_i32 s8, s50, s8
	;; [unrolled: 1-line block ×3, first 2 shown]
	s_add_i32 s14, s14, s1
	s_and_b32 s1, s4, 0xffff
	s_mul_i32 s6, s46, s6
	s_add_u32 s4, s8, s15
	s_addc_u32 s5, s12, s5
	s_add_u32 s4, s4, s6
	s_addc_u32 s5, s5, s14
	;; [unrolled: 2-line block ×3, first 2 shown]
	v_mov_b32_e32 v5, s26
	v_mad_u64_u32 v[2:3], null, s44, v0, s[4:5]
	v_mov_b32_e32 v6, s13
	v_mov_b32_e32 v7, s0
	s_mul_i32 s4, s45, s1
	s_mul_hi_u32 s5, s44, s1
	s_add_i32 s4, s5, s4
	v_mad_u64_u32 v[3:4], null, s45, v0, v[3:4]
	v_mov_b32_e32 v4, s27
	s_mul_i32 s5, s44, s1
	.p2align	6
.LBB6_2:                                ; =>This Inner Loop Header: Depth=1
	v_cmp_gt_i64_e32 vcc_lo, s[18:19], v[0:1]
	s_and_b32 vcc_lo, vcc_lo, s2
	v_cndmask_b32_e32 v10, s37, v4, vcc_lo
	v_cndmask_b32_e32 v11, s36, v5, vcc_lo
	;; [unrolled: 1-line block ×4, first 2 shown]
	v_mul_lo_u32 v10, v0, v10
	v_mad_u64_u32 v[8:9], null, v0, v11, v[8:9]
	v_mul_lo_u32 v11, v1, v11
	v_add_co_u32 v0, vcc_lo, v0, s1
	v_add_co_ci_u32_e64 v1, null, 0, v1, vcc_lo
	v_add3_u32 v9, v11, v9, v10
	v_cmp_le_i64_e32 vcc_lo, s[10:11], v[0:1]
	global_load_dword v8, v[8:9], off
	s_or_b32 s7, vcc_lo, s7
	s_waitcnt vmcnt(0)
	global_store_dword v[2:3], v8, off
	v_add_co_u32 v2, s0, v2, s5
	v_add_co_ci_u32_e64 v3, null, s4, v3, s0
	s_andn2_b32 exec_lo, exec_lo, s7
	s_cbranch_execnz .LBB6_2
.LBB6_3:
	s_endpgm
	.section	.rodata,"a",@progbits
	.p2align	6, 0x0
	.amdhsa_kernel _ZL19concat_f32_non_contILi3EEvPKcS1_Pcllllmmmmllllmmmmllllmmmm
		.amdhsa_group_segment_fixed_size 0
		.amdhsa_private_segment_fixed_size 0
		.amdhsa_kernarg_size 472
		.amdhsa_user_sgpr_count 6
		.amdhsa_user_sgpr_private_segment_buffer 1
		.amdhsa_user_sgpr_dispatch_ptr 0
		.amdhsa_user_sgpr_queue_ptr 0
		.amdhsa_user_sgpr_kernarg_segment_ptr 1
		.amdhsa_user_sgpr_dispatch_id 0
		.amdhsa_user_sgpr_flat_scratch_init 0
		.amdhsa_user_sgpr_private_segment_size 0
		.amdhsa_wavefront_size32 1
		.amdhsa_uses_dynamic_stack 0
		.amdhsa_system_sgpr_private_segment_wavefront_offset 0
		.amdhsa_system_sgpr_workgroup_id_x 1
		.amdhsa_system_sgpr_workgroup_id_y 1
		.amdhsa_system_sgpr_workgroup_id_z 1
		.amdhsa_system_sgpr_workgroup_info 0
		.amdhsa_system_vgpr_workitem_id 0
		.amdhsa_next_free_vgpr 12
		.amdhsa_next_free_sgpr 52
		.amdhsa_reserve_vcc 1
		.amdhsa_reserve_flat_scratch 0
		.amdhsa_float_round_mode_32 0
		.amdhsa_float_round_mode_16_64 0
		.amdhsa_float_denorm_mode_32 3
		.amdhsa_float_denorm_mode_16_64 3
		.amdhsa_dx10_clamp 1
		.amdhsa_ieee_mode 1
		.amdhsa_fp16_overflow 0
		.amdhsa_workgroup_processor_mode 1
		.amdhsa_memory_ordered 1
		.amdhsa_forward_progress 1
		.amdhsa_shared_vgpr_count 0
		.amdhsa_exception_fp_ieee_invalid_op 0
		.amdhsa_exception_fp_denorm_src 0
		.amdhsa_exception_fp_ieee_div_zero 0
		.amdhsa_exception_fp_ieee_overflow 0
		.amdhsa_exception_fp_ieee_underflow 0
		.amdhsa_exception_fp_ieee_inexact 0
		.amdhsa_exception_int_div_zero 0
	.end_amdhsa_kernel
	.section	.text._ZL19concat_f32_non_contILi3EEvPKcS1_Pcllllmmmmllllmmmmllllmmmm,"axG",@progbits,_ZL19concat_f32_non_contILi3EEvPKcS1_Pcllllmmmmllllmmmmllllmmmm,comdat
.Lfunc_end6:
	.size	_ZL19concat_f32_non_contILi3EEvPKcS1_Pcllllmmmmllllmmmmllllmmmm, .Lfunc_end6-_ZL19concat_f32_non_contILi3EEvPKcS1_Pcllllmmmmllllmmmmllllmmmm
                                        ; -- End function
	.set _ZL19concat_f32_non_contILi3EEvPKcS1_Pcllllmmmmllllmmmmllllmmmm.num_vgpr, 12
	.set _ZL19concat_f32_non_contILi3EEvPKcS1_Pcllllmmmmllllmmmmllllmmmm.num_agpr, 0
	.set _ZL19concat_f32_non_contILi3EEvPKcS1_Pcllllmmmmllllmmmmllllmmmm.numbered_sgpr, 52
	.set _ZL19concat_f32_non_contILi3EEvPKcS1_Pcllllmmmmllllmmmmllllmmmm.num_named_barrier, 0
	.set _ZL19concat_f32_non_contILi3EEvPKcS1_Pcllllmmmmllllmmmmllllmmmm.private_seg_size, 0
	.set _ZL19concat_f32_non_contILi3EEvPKcS1_Pcllllmmmmllllmmmmllllmmmm.uses_vcc, 1
	.set _ZL19concat_f32_non_contILi3EEvPKcS1_Pcllllmmmmllllmmmmllllmmmm.uses_flat_scratch, 0
	.set _ZL19concat_f32_non_contILi3EEvPKcS1_Pcllllmmmmllllmmmmllllmmmm.has_dyn_sized_stack, 0
	.set _ZL19concat_f32_non_contILi3EEvPKcS1_Pcllllmmmmllllmmmmllllmmmm.has_recursion, 0
	.set _ZL19concat_f32_non_contILi3EEvPKcS1_Pcllllmmmmllllmmmmllllmmmm.has_indirect_call, 0
	.section	.AMDGPU.csdata,"",@progbits
; Kernel info:
; codeLenInByte = 576
; TotalNumSgprs: 54
; NumVgprs: 12
; ScratchSize: 0
; MemoryBound: 0
; FloatMode: 240
; IeeeMode: 1
; LDSByteSize: 0 bytes/workgroup (compile time only)
; SGPRBlocks: 0
; VGPRBlocks: 1
; NumSGPRsForWavesPerEU: 54
; NumVGPRsForWavesPerEU: 12
; Occupancy: 16
; WaveLimiterHint : 1
; COMPUTE_PGM_RSRC2:SCRATCH_EN: 0
; COMPUTE_PGM_RSRC2:USER_SGPR: 6
; COMPUTE_PGM_RSRC2:TRAP_HANDLER: 0
; COMPUTE_PGM_RSRC2:TGID_X_EN: 1
; COMPUTE_PGM_RSRC2:TGID_Y_EN: 1
; COMPUTE_PGM_RSRC2:TGID_Z_EN: 1
; COMPUTE_PGM_RSRC2:TIDIG_COMP_CNT: 0
	.section	.AMDGPU.gpr_maximums,"",@progbits
	.set amdgpu.max_num_vgpr, 0
	.set amdgpu.max_num_agpr, 0
	.set amdgpu.max_num_sgpr, 0
	.section	.AMDGPU.csdata,"",@progbits
	.type	__hip_cuid_41599afd40953333,@object ; @__hip_cuid_41599afd40953333
	.section	.bss,"aw",@nobits
	.globl	__hip_cuid_41599afd40953333
__hip_cuid_41599afd40953333:
	.byte	0                               ; 0x0
	.size	__hip_cuid_41599afd40953333, 1

	.ident	"AMD clang version 22.0.0git (https://github.com/RadeonOpenCompute/llvm-project roc-7.2.4 26084 f58b06dce1f9c15707c5f808fd002e18c2accf7e)"
	.section	".note.GNU-stack","",@progbits
	.addrsig
	.addrsig_sym __hip_cuid_41599afd40953333
	.amdgpu_metadata
---
amdhsa.kernels:
  - .args:
      - .address_space:  global
        .offset:         0
        .size:           8
        .value_kind:     global_buffer
      - .address_space:  global
        .offset:         8
        .size:           8
        .value_kind:     global_buffer
      - .address_space:  global
        .offset:         16
        .size:           8
        .value_kind:     global_buffer
      - .offset:         24
        .size:           8
        .value_kind:     by_value
      - .offset:         32
        .size:           8
        .value_kind:     by_value
      - .offset:         40
        .size:           8
        .value_kind:     by_value
      - .offset:         48
        .size:           8
        .value_kind:     by_value
      - .offset:         56
        .size:           8
        .value_kind:     by_value
      - .offset:         64
        .size:           8
        .value_kind:     by_value
      - .offset:         72
        .size:           4
        .value_kind:     hidden_block_count_x
      - .offset:         76
        .size:           4
        .value_kind:     hidden_block_count_y
      - .offset:         80
        .size:           4
        .value_kind:     hidden_block_count_z
      - .offset:         84
        .size:           2
        .value_kind:     hidden_group_size_x
      - .offset:         86
        .size:           2
        .value_kind:     hidden_group_size_y
      - .offset:         88
        .size:           2
        .value_kind:     hidden_group_size_z
      - .offset:         90
        .size:           2
        .value_kind:     hidden_remainder_x
      - .offset:         92
        .size:           2
        .value_kind:     hidden_remainder_y
      - .offset:         94
        .size:           2
        .value_kind:     hidden_remainder_z
      - .offset:         112
        .size:           8
        .value_kind:     hidden_global_offset_x
      - .offset:         120
        .size:           8
        .value_kind:     hidden_global_offset_y
      - .offset:         128
        .size:           8
        .value_kind:     hidden_global_offset_z
      - .offset:         136
        .size:           2
        .value_kind:     hidden_grid_dims
    .group_segment_fixed_size: 0
    .kernarg_segment_align: 8
    .kernarg_segment_size: 328
    .language:       OpenCL C
    .language_version:
      - 2
      - 0
    .max_flat_workgroup_size: 256
    .name:           _ZL15concat_f32_contILi0EEvPKfS1_Pfllllll
    .private_segment_fixed_size: 0
    .sgpr_count:     37
    .sgpr_spill_count: 0
    .symbol:         _ZL15concat_f32_contILi0EEvPKfS1_Pfllllll.kd
    .uniform_work_group_size: 1
    .uses_dynamic_stack: false
    .vgpr_count:     19
    .vgpr_spill_count: 0
    .wavefront_size: 32
    .workgroup_processor_mode: 1
  - .args:
      - .address_space:  global
        .offset:         0
        .size:           8
        .value_kind:     global_buffer
      - .address_space:  global
        .offset:         8
        .size:           8
        .value_kind:     global_buffer
      - .address_space:  global
        .offset:         16
        .size:           8
        .value_kind:     global_buffer
      - .offset:         24
        .size:           8
        .value_kind:     by_value
      - .offset:         32
        .size:           8
        .value_kind:     by_value
      - .offset:         40
        .size:           8
        .value_kind:     by_value
      - .offset:         48
        .size:           8
        .value_kind:     by_value
      - .offset:         56
        .size:           8
        .value_kind:     by_value
      - .offset:         64
        .size:           8
        .value_kind:     by_value
      - .offset:         72
        .size:           4
        .value_kind:     hidden_block_count_x
      - .offset:         76
        .size:           4
        .value_kind:     hidden_block_count_y
      - .offset:         80
        .size:           4
        .value_kind:     hidden_block_count_z
      - .offset:         84
        .size:           2
        .value_kind:     hidden_group_size_x
      - .offset:         86
        .size:           2
        .value_kind:     hidden_group_size_y
      - .offset:         88
        .size:           2
        .value_kind:     hidden_group_size_z
      - .offset:         90
        .size:           2
        .value_kind:     hidden_remainder_x
      - .offset:         92
        .size:           2
        .value_kind:     hidden_remainder_y
      - .offset:         94
        .size:           2
        .value_kind:     hidden_remainder_z
      - .offset:         112
        .size:           8
        .value_kind:     hidden_global_offset_x
      - .offset:         120
        .size:           8
        .value_kind:     hidden_global_offset_y
      - .offset:         128
        .size:           8
        .value_kind:     hidden_global_offset_z
      - .offset:         136
        .size:           2
        .value_kind:     hidden_grid_dims
    .group_segment_fixed_size: 0
    .kernarg_segment_align: 8
    .kernarg_segment_size: 328
    .language:       OpenCL C
    .language_version:
      - 2
      - 0
    .max_flat_workgroup_size: 256
    .name:           _ZL15concat_f32_contILi1EEvPKfS1_Pfllllll
    .private_segment_fixed_size: 0
    .sgpr_count:     37
    .sgpr_spill_count: 0
    .symbol:         _ZL15concat_f32_contILi1EEvPKfS1_Pfllllll.kd
    .uniform_work_group_size: 1
    .uses_dynamic_stack: false
    .vgpr_count:     17
    .vgpr_spill_count: 0
    .wavefront_size: 32
    .workgroup_processor_mode: 1
  - .args:
      - .address_space:  global
        .offset:         0
        .size:           8
        .value_kind:     global_buffer
      - .address_space:  global
        .offset:         8
        .size:           8
        .value_kind:     global_buffer
      - .address_space:  global
        .offset:         16
        .size:           8
        .value_kind:     global_buffer
      - .offset:         24
        .size:           8
        .value_kind:     by_value
      - .offset:         32
        .size:           8
        .value_kind:     by_value
      - .offset:         40
        .size:           8
        .value_kind:     by_value
      - .offset:         48
        .size:           8
        .value_kind:     by_value
      - .offset:         56
        .size:           8
        .value_kind:     by_value
      - .offset:         64
        .size:           8
        .value_kind:     by_value
      - .offset:         72
        .size:           4
        .value_kind:     hidden_block_count_x
      - .offset:         76
        .size:           4
        .value_kind:     hidden_block_count_y
      - .offset:         80
        .size:           4
        .value_kind:     hidden_block_count_z
      - .offset:         84
        .size:           2
        .value_kind:     hidden_group_size_x
      - .offset:         86
        .size:           2
        .value_kind:     hidden_group_size_y
      - .offset:         88
        .size:           2
        .value_kind:     hidden_group_size_z
      - .offset:         90
        .size:           2
        .value_kind:     hidden_remainder_x
      - .offset:         92
        .size:           2
        .value_kind:     hidden_remainder_y
      - .offset:         94
        .size:           2
        .value_kind:     hidden_remainder_z
      - .offset:         112
        .size:           8
        .value_kind:     hidden_global_offset_x
      - .offset:         120
        .size:           8
        .value_kind:     hidden_global_offset_y
      - .offset:         128
        .size:           8
        .value_kind:     hidden_global_offset_z
      - .offset:         136
        .size:           2
        .value_kind:     hidden_grid_dims
    .group_segment_fixed_size: 0
    .kernarg_segment_align: 8
    .kernarg_segment_size: 328
    .language:       OpenCL C
    .language_version:
      - 2
      - 0
    .max_flat_workgroup_size: 256
    .name:           _ZL15concat_f32_contILi2EEvPKfS1_Pfllllll
    .private_segment_fixed_size: 0
    .sgpr_count:     22
    .sgpr_spill_count: 0
    .symbol:         _ZL15concat_f32_contILi2EEvPKfS1_Pfllllll.kd
    .uniform_work_group_size: 1
    .uses_dynamic_stack: false
    .vgpr_count:     12
    .vgpr_spill_count: 0
    .wavefront_size: 32
    .workgroup_processor_mode: 1
  - .args:
      - .address_space:  global
        .offset:         0
        .size:           8
        .value_kind:     global_buffer
      - .address_space:  global
        .offset:         8
        .size:           8
        .value_kind:     global_buffer
      - .address_space:  global
        .offset:         16
        .size:           8
        .value_kind:     global_buffer
      - .offset:         24
        .size:           8
        .value_kind:     by_value
      - .offset:         32
        .size:           8
        .value_kind:     by_value
      - .offset:         40
        .size:           8
        .value_kind:     by_value
      - .offset:         48
        .size:           8
        .value_kind:     by_value
      - .offset:         56
        .size:           8
        .value_kind:     by_value
      - .offset:         64
        .size:           8
        .value_kind:     by_value
      - .offset:         72
        .size:           8
        .value_kind:     by_value
      - .offset:         80
        .size:           8
        .value_kind:     by_value
      - .offset:         88
        .size:           8
        .value_kind:     by_value
      - .offset:         96
        .size:           8
        .value_kind:     by_value
      - .offset:         104
        .size:           8
        .value_kind:     by_value
      - .offset:         112
        .size:           8
        .value_kind:     by_value
      - .offset:         120
        .size:           8
        .value_kind:     by_value
      - .offset:         128
        .size:           8
        .value_kind:     by_value
      - .offset:         136
        .size:           8
        .value_kind:     by_value
      - .offset:         144
        .size:           8
        .value_kind:     by_value
      - .offset:         152
        .size:           8
        .value_kind:     by_value
      - .offset:         160
        .size:           8
        .value_kind:     by_value
      - .offset:         168
        .size:           8
        .value_kind:     by_value
      - .offset:         176
        .size:           8
        .value_kind:     by_value
      - .offset:         184
        .size:           8
        .value_kind:     by_value
      - .offset:         192
        .size:           8
        .value_kind:     by_value
      - .offset:         200
        .size:           8
        .value_kind:     by_value
      - .offset:         208
        .size:           8
        .value_kind:     by_value
      - .offset:         216
        .size:           4
        .value_kind:     hidden_block_count_x
      - .offset:         220
        .size:           4
        .value_kind:     hidden_block_count_y
      - .offset:         224
        .size:           4
        .value_kind:     hidden_block_count_z
      - .offset:         228
        .size:           2
        .value_kind:     hidden_group_size_x
      - .offset:         230
        .size:           2
        .value_kind:     hidden_group_size_y
      - .offset:         232
        .size:           2
        .value_kind:     hidden_group_size_z
      - .offset:         234
        .size:           2
        .value_kind:     hidden_remainder_x
      - .offset:         236
        .size:           2
        .value_kind:     hidden_remainder_y
      - .offset:         238
        .size:           2
        .value_kind:     hidden_remainder_z
      - .offset:         256
        .size:           8
        .value_kind:     hidden_global_offset_x
      - .offset:         264
        .size:           8
        .value_kind:     hidden_global_offset_y
      - .offset:         272
        .size:           8
        .value_kind:     hidden_global_offset_z
      - .offset:         280
        .size:           2
        .value_kind:     hidden_grid_dims
    .group_segment_fixed_size: 0
    .kernarg_segment_align: 8
    .kernarg_segment_size: 472
    .language:       OpenCL C
    .language_version:
      - 2
      - 0
    .max_flat_workgroup_size: 256
    .name:           _ZL19concat_f32_non_contILi0EEvPKcS1_Pcllllmmmmllllmmmmllllmmmm
    .private_segment_fixed_size: 0
    .sgpr_count:     54
    .sgpr_spill_count: 0
    .symbol:         _ZL19concat_f32_non_contILi0EEvPKcS1_Pcllllmmmmllllmmmmllllmmmm.kd
    .uniform_work_group_size: 1
    .uses_dynamic_stack: false
    .vgpr_count:     10
    .vgpr_spill_count: 0
    .wavefront_size: 32
    .workgroup_processor_mode: 1
  - .args:
      - .address_space:  global
        .offset:         0
        .size:           8
        .value_kind:     global_buffer
      - .address_space:  global
        .offset:         8
        .size:           8
        .value_kind:     global_buffer
      - .address_space:  global
        .offset:         16
        .size:           8
        .value_kind:     global_buffer
      - .offset:         24
        .size:           8
        .value_kind:     by_value
      - .offset:         32
        .size:           8
        .value_kind:     by_value
      - .offset:         40
        .size:           8
        .value_kind:     by_value
      - .offset:         48
        .size:           8
        .value_kind:     by_value
      - .offset:         56
        .size:           8
        .value_kind:     by_value
      - .offset:         64
        .size:           8
        .value_kind:     by_value
      - .offset:         72
        .size:           8
        .value_kind:     by_value
      - .offset:         80
        .size:           8
        .value_kind:     by_value
      - .offset:         88
        .size:           8
        .value_kind:     by_value
      - .offset:         96
        .size:           8
        .value_kind:     by_value
      - .offset:         104
        .size:           8
        .value_kind:     by_value
      - .offset:         112
        .size:           8
        .value_kind:     by_value
      - .offset:         120
        .size:           8
        .value_kind:     by_value
      - .offset:         128
        .size:           8
        .value_kind:     by_value
      - .offset:         136
        .size:           8
        .value_kind:     by_value
      - .offset:         144
        .size:           8
        .value_kind:     by_value
      - .offset:         152
        .size:           8
        .value_kind:     by_value
      - .offset:         160
        .size:           8
        .value_kind:     by_value
      - .offset:         168
        .size:           8
        .value_kind:     by_value
      - .offset:         176
        .size:           8
        .value_kind:     by_value
      - .offset:         184
        .size:           8
        .value_kind:     by_value
      - .offset:         192
        .size:           8
        .value_kind:     by_value
      - .offset:         200
        .size:           8
        .value_kind:     by_value
      - .offset:         208
        .size:           8
        .value_kind:     by_value
      - .offset:         216
        .size:           4
        .value_kind:     hidden_block_count_x
      - .offset:         220
        .size:           4
        .value_kind:     hidden_block_count_y
      - .offset:         224
        .size:           4
        .value_kind:     hidden_block_count_z
      - .offset:         228
        .size:           2
        .value_kind:     hidden_group_size_x
      - .offset:         230
        .size:           2
        .value_kind:     hidden_group_size_y
      - .offset:         232
        .size:           2
        .value_kind:     hidden_group_size_z
      - .offset:         234
        .size:           2
        .value_kind:     hidden_remainder_x
      - .offset:         236
        .size:           2
        .value_kind:     hidden_remainder_y
      - .offset:         238
        .size:           2
        .value_kind:     hidden_remainder_z
      - .offset:         256
        .size:           8
        .value_kind:     hidden_global_offset_x
      - .offset:         264
        .size:           8
        .value_kind:     hidden_global_offset_y
      - .offset:         272
        .size:           8
        .value_kind:     hidden_global_offset_z
      - .offset:         280
        .size:           2
        .value_kind:     hidden_grid_dims
    .group_segment_fixed_size: 0
    .kernarg_segment_align: 8
    .kernarg_segment_size: 472
    .language:       OpenCL C
    .language_version:
      - 2
      - 0
    .max_flat_workgroup_size: 256
    .name:           _ZL19concat_f32_non_contILi1EEvPKcS1_Pcllllmmmmllllmmmmllllmmmm
    .private_segment_fixed_size: 0
    .sgpr_count:     54
    .sgpr_spill_count: 0
    .symbol:         _ZL19concat_f32_non_contILi1EEvPKcS1_Pcllllmmmmllllmmmmllllmmmm.kd
    .uniform_work_group_size: 1
    .uses_dynamic_stack: false
    .vgpr_count:     12
    .vgpr_spill_count: 0
    .wavefront_size: 32
    .workgroup_processor_mode: 1
  - .args:
      - .address_space:  global
        .offset:         0
        .size:           8
        .value_kind:     global_buffer
      - .address_space:  global
        .offset:         8
        .size:           8
        .value_kind:     global_buffer
      - .address_space:  global
        .offset:         16
        .size:           8
        .value_kind:     global_buffer
      - .offset:         24
        .size:           8
        .value_kind:     by_value
      - .offset:         32
        .size:           8
        .value_kind:     by_value
      - .offset:         40
        .size:           8
        .value_kind:     by_value
      - .offset:         48
        .size:           8
        .value_kind:     by_value
      - .offset:         56
        .size:           8
        .value_kind:     by_value
      - .offset:         64
        .size:           8
        .value_kind:     by_value
      - .offset:         72
        .size:           8
        .value_kind:     by_value
      - .offset:         80
        .size:           8
        .value_kind:     by_value
      - .offset:         88
        .size:           8
        .value_kind:     by_value
      - .offset:         96
        .size:           8
        .value_kind:     by_value
      - .offset:         104
        .size:           8
        .value_kind:     by_value
      - .offset:         112
        .size:           8
        .value_kind:     by_value
      - .offset:         120
        .size:           8
        .value_kind:     by_value
      - .offset:         128
        .size:           8
        .value_kind:     by_value
      - .offset:         136
        .size:           8
        .value_kind:     by_value
      - .offset:         144
        .size:           8
        .value_kind:     by_value
      - .offset:         152
        .size:           8
        .value_kind:     by_value
      - .offset:         160
        .size:           8
        .value_kind:     by_value
      - .offset:         168
        .size:           8
        .value_kind:     by_value
      - .offset:         176
        .size:           8
        .value_kind:     by_value
      - .offset:         184
        .size:           8
        .value_kind:     by_value
      - .offset:         192
        .size:           8
        .value_kind:     by_value
      - .offset:         200
        .size:           8
        .value_kind:     by_value
      - .offset:         208
        .size:           8
        .value_kind:     by_value
      - .offset:         216
        .size:           4
        .value_kind:     hidden_block_count_x
      - .offset:         220
        .size:           4
        .value_kind:     hidden_block_count_y
      - .offset:         224
        .size:           4
        .value_kind:     hidden_block_count_z
      - .offset:         228
        .size:           2
        .value_kind:     hidden_group_size_x
      - .offset:         230
        .size:           2
        .value_kind:     hidden_group_size_y
      - .offset:         232
        .size:           2
        .value_kind:     hidden_group_size_z
      - .offset:         234
        .size:           2
        .value_kind:     hidden_remainder_x
      - .offset:         236
        .size:           2
        .value_kind:     hidden_remainder_y
      - .offset:         238
        .size:           2
        .value_kind:     hidden_remainder_z
      - .offset:         256
        .size:           8
        .value_kind:     hidden_global_offset_x
      - .offset:         264
        .size:           8
        .value_kind:     hidden_global_offset_y
      - .offset:         272
        .size:           8
        .value_kind:     hidden_global_offset_z
      - .offset:         280
        .size:           2
        .value_kind:     hidden_grid_dims
    .group_segment_fixed_size: 0
    .kernarg_segment_align: 8
    .kernarg_segment_size: 472
    .language:       OpenCL C
    .language_version:
      - 2
      - 0
    .max_flat_workgroup_size: 256
    .name:           _ZL19concat_f32_non_contILi2EEvPKcS1_Pcllllmmmmllllmmmmllllmmmm
    .private_segment_fixed_size: 0
    .sgpr_count:     54
    .sgpr_spill_count: 0
    .symbol:         _ZL19concat_f32_non_contILi2EEvPKcS1_Pcllllmmmmllllmmmmllllmmmm.kd
    .uniform_work_group_size: 1
    .uses_dynamic_stack: false
    .vgpr_count:     12
    .vgpr_spill_count: 0
    .wavefront_size: 32
    .workgroup_processor_mode: 1
  - .args:
      - .address_space:  global
        .offset:         0
        .size:           8
        .value_kind:     global_buffer
      - .address_space:  global
        .offset:         8
        .size:           8
        .value_kind:     global_buffer
      - .address_space:  global
        .offset:         16
        .size:           8
        .value_kind:     global_buffer
      - .offset:         24
        .size:           8
        .value_kind:     by_value
      - .offset:         32
        .size:           8
        .value_kind:     by_value
      - .offset:         40
        .size:           8
        .value_kind:     by_value
      - .offset:         48
        .size:           8
        .value_kind:     by_value
      - .offset:         56
        .size:           8
        .value_kind:     by_value
      - .offset:         64
        .size:           8
        .value_kind:     by_value
      - .offset:         72
        .size:           8
        .value_kind:     by_value
      - .offset:         80
        .size:           8
        .value_kind:     by_value
      - .offset:         88
        .size:           8
        .value_kind:     by_value
      - .offset:         96
        .size:           8
        .value_kind:     by_value
      - .offset:         104
        .size:           8
        .value_kind:     by_value
      - .offset:         112
        .size:           8
        .value_kind:     by_value
      - .offset:         120
        .size:           8
        .value_kind:     by_value
      - .offset:         128
        .size:           8
        .value_kind:     by_value
      - .offset:         136
        .size:           8
        .value_kind:     by_value
      - .offset:         144
        .size:           8
        .value_kind:     by_value
      - .offset:         152
        .size:           8
        .value_kind:     by_value
      - .offset:         160
        .size:           8
        .value_kind:     by_value
      - .offset:         168
        .size:           8
        .value_kind:     by_value
      - .offset:         176
        .size:           8
        .value_kind:     by_value
      - .offset:         184
        .size:           8
        .value_kind:     by_value
      - .offset:         192
        .size:           8
        .value_kind:     by_value
      - .offset:         200
        .size:           8
        .value_kind:     by_value
      - .offset:         208
        .size:           8
        .value_kind:     by_value
      - .offset:         216
        .size:           4
        .value_kind:     hidden_block_count_x
      - .offset:         220
        .size:           4
        .value_kind:     hidden_block_count_y
      - .offset:         224
        .size:           4
        .value_kind:     hidden_block_count_z
      - .offset:         228
        .size:           2
        .value_kind:     hidden_group_size_x
      - .offset:         230
        .size:           2
        .value_kind:     hidden_group_size_y
      - .offset:         232
        .size:           2
        .value_kind:     hidden_group_size_z
      - .offset:         234
        .size:           2
        .value_kind:     hidden_remainder_x
      - .offset:         236
        .size:           2
        .value_kind:     hidden_remainder_y
      - .offset:         238
        .size:           2
        .value_kind:     hidden_remainder_z
      - .offset:         256
        .size:           8
        .value_kind:     hidden_global_offset_x
      - .offset:         264
        .size:           8
        .value_kind:     hidden_global_offset_y
      - .offset:         272
        .size:           8
        .value_kind:     hidden_global_offset_z
      - .offset:         280
        .size:           2
        .value_kind:     hidden_grid_dims
    .group_segment_fixed_size: 0
    .kernarg_segment_align: 8
    .kernarg_segment_size: 472
    .language:       OpenCL C
    .language_version:
      - 2
      - 0
    .max_flat_workgroup_size: 256
    .name:           _ZL19concat_f32_non_contILi3EEvPKcS1_Pcllllmmmmllllmmmmllllmmmm
    .private_segment_fixed_size: 0
    .sgpr_count:     54
    .sgpr_spill_count: 0
    .symbol:         _ZL19concat_f32_non_contILi3EEvPKcS1_Pcllllmmmmllllmmmmllllmmmm.kd
    .uniform_work_group_size: 1
    .uses_dynamic_stack: false
    .vgpr_count:     12
    .vgpr_spill_count: 0
    .wavefront_size: 32
    .workgroup_processor_mode: 1
amdhsa.target:   amdgcn-amd-amdhsa--gfx1030
amdhsa.version:
  - 1
  - 2
...

	.end_amdgpu_metadata
